;; amdgpu-corpus repo=ROCm/rocFFT kind=compiled arch=gfx1030 opt=O3
	.text
	.amdgcn_target "amdgcn-amd-amdhsa--gfx1030"
	.amdhsa_code_object_version 6
	.protected	bluestein_single_fwd_len663_dim1_dp_op_CI_CI ; -- Begin function bluestein_single_fwd_len663_dim1_dp_op_CI_CI
	.globl	bluestein_single_fwd_len663_dim1_dp_op_CI_CI
	.p2align	8
	.type	bluestein_single_fwd_len663_dim1_dp_op_CI_CI,@function
bluestein_single_fwd_len663_dim1_dp_op_CI_CI: ; @bluestein_single_fwd_len663_dim1_dp_op_CI_CI
; %bb.0:
	v_mul_u32_u24_e32 v1, 0x506, v0
	s_mov_b64 s[62:63], s[2:3]
	s_mov_b64 s[60:61], s[0:1]
	s_load_dwordx4 s[0:3], s[4:5], 0x28
	s_add_u32 s60, s60, s7
	v_lshrrev_b32_e32 v1, 16, v1
	s_addc_u32 s61, s61, 0
	v_mov_b32_e32 v4, 0
	v_add_nc_u32_e32 v3, s6, v1
	v_mov_b32_e32 v2, v3
	buffer_store_dword v2, off, s[60:63], 0 offset:4 ; 4-byte Folded Spill
	buffer_store_dword v3, off, s[60:63], 0 offset:8 ; 4-byte Folded Spill
	s_waitcnt lgkmcnt(0)
	v_cmp_gt_u64_e32 vcc_lo, s[0:1], v[3:4]
	s_and_saveexec_b32 s0, vcc_lo
	s_cbranch_execz .LBB0_23
; %bb.1:
	s_clause 0x1
	s_load_dwordx2 s[12:13], s[4:5], 0x0
	s_load_dwordx2 s[14:15], s[4:5], 0x38
	v_mul_lo_u16 v1, v1, 51
	v_sub_nc_u16 v0, v0, v1
	v_and_b32_e32 v1, 0xffff, v0
	v_cmp_gt_u16_e32 vcc_lo, 39, v0
	v_lshlrev_b32_e32 v255, 4, v1
	buffer_store_dword v1, off, s[60:63], 0 ; 4-byte Folded Spill
	s_and_saveexec_b32 s1, vcc_lo
	s_cbranch_execz .LBB0_3
; %bb.2:
	s_load_dwordx2 s[6:7], s[4:5], 0x18
	s_waitcnt lgkmcnt(0)
	v_add_co_u32 v18, s0, s12, v255
	v_add_co_ci_u32_e64 v19, null, s13, 0, s0
	v_add_co_u32 v24, s0, 0x800, v18
	v_add_co_ci_u32_e64 v25, s0, 0, v19, s0
	v_add_co_u32 v38, s0, 0x1000, v18
	v_add_co_ci_u32_e64 v39, s0, 0, v19, s0
	;; [unrolled: 2-line block ×3, first 2 shown]
	v_add_co_u32 v128, s0, 0x2000, v18
	s_load_dwordx4 s[8:11], s[6:7], 0x0
	s_clause 0x3
	global_load_dwordx4 v[0:3], v255, s[12:13]
	global_load_dwordx4 v[4:7], v255, s[12:13] offset:624
	global_load_dwordx4 v[8:11], v255, s[12:13] offset:1248
	;; [unrolled: 1-line block ×3, first 2 shown]
	s_clause 0x2
	buffer_load_dword v16, off, s[60:63], 0 offset:4
	buffer_load_dword v17, off, s[60:63], 0 offset:8
	buffer_load_dword v21, off, s[60:63], 0
	v_add_co_ci_u32_e64 v129, s0, 0, v19, s0
	s_waitcnt lgkmcnt(0)
	s_mul_i32 s6, s9, 0x270
	s_mul_hi_u32 s7, s8, 0x270
	s_add_i32 s7, s7, s6
	s_waitcnt vmcnt(2)
	v_mov_b32_e32 v20, v16
	s_waitcnt vmcnt(0)
	v_mad_u64_u32 v[40:41], null, s8, v21, 0
	v_mad_u64_u32 v[36:37], null, s10, v20, 0
	v_mov_b32_e32 v17, v41
	v_mov_b32_e32 v16, v37
	v_mad_u64_u32 v[41:42], null, s9, v21, v[17:18]
	v_mad_u64_u32 v[26:27], null, s11, v20, v[16:17]
	s_clause 0x1
	global_load_dwordx4 v[16:19], v[24:25], off offset:448
	global_load_dwordx4 v[20:23], v[24:25], off offset:1072
	v_lshlrev_b64 v[40:41], 4, v[40:41]
	v_mov_b32_e32 v37, v26
	s_clause 0x2
	global_load_dwordx4 v[24:27], v[24:25], off offset:1696
	global_load_dwordx4 v[28:31], v[38:39], off offset:272
	;; [unrolled: 1-line block ×3, first 2 shown]
	v_lshlrev_b64 v[42:43], 4, v[36:37]
	global_load_dwordx4 v[36:39], v[38:39], off offset:1520
	v_add_co_u32 v42, s0, s2, v42
	v_add_co_ci_u32_e64 v43, s0, s3, v43, s0
	s_mul_i32 s2, s8, 0x270
	v_add_co_u32 v56, s0, v42, v40
	v_add_co_ci_u32_e64 v57, s0, v43, v41, s0
	s_clause 0x1
	global_load_dwordx4 v[40:43], v[52:53], off offset:96
	global_load_dwordx4 v[44:47], v[52:53], off offset:720
	v_add_co_u32 v60, s0, v56, s2
	v_add_co_ci_u32_e64 v61, s0, s7, v57, s0
	s_clause 0x1
	global_load_dwordx4 v[48:51], v[52:53], off offset:1344
	global_load_dwordx4 v[52:55], v[52:53], off offset:1968
	v_add_co_u32 v64, s0, v60, s2
	v_add_co_ci_u32_e64 v65, s0, s7, v61, s0
	s_clause 0x1
	global_load_dwordx4 v[56:59], v[56:57], off
	global_load_dwordx4 v[60:63], v[60:61], off
	v_add_co_u32 v68, s0, v64, s2
	v_add_co_ci_u32_e64 v69, s0, s7, v65, s0
	v_add_co_u32 v72, s0, v68, s2
	v_add_co_ci_u32_e64 v73, s0, s7, v69, s0
	s_clause 0x1
	global_load_dwordx4 v[64:67], v[64:65], off
	global_load_dwordx4 v[68:71], v[68:69], off
	v_add_co_u32 v76, s0, v72, s2
	v_add_co_ci_u32_e64 v77, s0, s7, v73, s0
	global_load_dwordx4 v[72:75], v[72:73], off
	v_add_co_u32 v80, s0, v76, s2
	v_add_co_ci_u32_e64 v81, s0, s7, v77, s0
	;; [unrolled: 3-line block ×12, first 2 shown]
	s_clause 0x1
	global_load_dwordx4 v[116:119], v[128:129], off offset:544
	global_load_dwordx4 v[120:123], v[128:129], off offset:1168
	global_load_dwordx4 v[124:127], v[124:125], off
	global_load_dwordx4 v[128:131], v[128:129], off offset:1792
	global_load_dwordx4 v[132:135], v[132:133], off
	s_waitcnt vmcnt(19)
	v_mul_f64 v[136:137], v[58:59], v[2:3]
	v_mul_f64 v[2:3], v[56:57], v[2:3]
	s_waitcnt vmcnt(18)
	v_mul_f64 v[138:139], v[62:63], v[6:7]
	v_mul_f64 v[6:7], v[60:61], v[6:7]
	;; [unrolled: 3-line block ×6, first 2 shown]
	v_fma_f64 v[56:57], v[56:57], v[0:1], v[136:137]
	v_fma_f64 v[58:59], v[58:59], v[0:1], -v[2:3]
	v_fma_f64 v[0:1], v[60:61], v[4:5], v[138:139]
	s_waitcnt vmcnt(13)
	v_mul_f64 v[60:61], v[82:83], v[26:27]
	v_mul_f64 v[26:27], v[80:81], v[26:27]
	v_fma_f64 v[2:3], v[62:63], v[4:5], -v[6:7]
	s_waitcnt vmcnt(12)
	v_mul_f64 v[62:63], v[86:87], v[30:31]
	v_mul_f64 v[30:31], v[84:85], v[30:31]
	v_fma_f64 v[4:5], v[64:65], v[8:9], v[140:141]
	v_fma_f64 v[6:7], v[66:67], v[8:9], -v[10:11]
	v_fma_f64 v[8:9], v[68:69], v[12:13], v[142:143]
	s_waitcnt vmcnt(11)
	v_mul_f64 v[64:65], v[90:91], v[34:35]
	v_mul_f64 v[34:35], v[88:89], v[34:35]
	v_fma_f64 v[10:11], v[70:71], v[12:13], -v[14:15]
	v_fma_f64 v[12:13], v[72:73], v[16:17], v[144:145]
	v_fma_f64 v[14:15], v[74:75], v[16:17], -v[18:19]
	s_waitcnt vmcnt(10)
	v_mul_f64 v[66:67], v[94:95], v[38:39]
	v_mul_f64 v[38:39], v[92:93], v[38:39]
	v_fma_f64 v[16:17], v[76:77], v[20:21], v[146:147]
	v_fma_f64 v[18:19], v[78:79], v[20:21], -v[22:23]
	s_waitcnt vmcnt(9)
	v_mul_f64 v[68:69], v[98:99], v[42:43]
	v_mul_f64 v[42:43], v[96:97], v[42:43]
	;; [unrolled: 5-line block ×6, first 2 shown]
	s_waitcnt vmcnt(2)
	v_mul_f64 v[118:119], v[126:127], v[122:123]
	v_mul_f64 v[122:123], v[124:125], v[122:123]
	s_waitcnt vmcnt(0)
	v_mul_f64 v[136:137], v[134:135], v[130:131]
	v_mul_f64 v[130:131], v[132:133], v[130:131]
	v_fma_f64 v[36:37], v[96:97], v[40:41], v[68:69]
	v_fma_f64 v[38:39], v[98:99], v[40:41], -v[42:43]
	v_fma_f64 v[40:41], v[100:101], v[44:45], v[70:71]
	v_fma_f64 v[42:43], v[102:103], v[44:45], -v[46:47]
	;; [unrolled: 2-line block ×7, first 2 shown]
	ds_write_b128 v255, v[56:59]
	ds_write_b128 v255, v[0:3] offset:624
	ds_write_b128 v255, v[4:7] offset:1248
	;; [unrolled: 1-line block ×16, first 2 shown]
.LBB0_3:
	s_or_b32 exec_lo, exec_lo, s1
	s_clause 0x1
	s_load_dwordx2 s[0:1], s[4:5], 0x20
	s_load_dwordx2 s[2:3], s[4:5], 0x8
	s_waitcnt lgkmcnt(0)
	s_waitcnt_vscnt null, 0x0
	s_barrier
	buffer_gl0_inv
                                        ; implicit-def: $vgpr8_vgpr9
                                        ; implicit-def: $vgpr32_vgpr33
                                        ; implicit-def: $vgpr40_vgpr41
                                        ; implicit-def: $vgpr44_vgpr45
                                        ; implicit-def: $vgpr48_vgpr49
                                        ; implicit-def: $vgpr56_vgpr57
                                        ; implicit-def: $vgpr60_vgpr61
                                        ; implicit-def: $vgpr64_vgpr65
                                        ; implicit-def: $vgpr68_vgpr69
                                        ; implicit-def: $vgpr72_vgpr73
                                        ; implicit-def: $vgpr52_vgpr53
                                        ; implicit-def: $vgpr36_vgpr37
                                        ; implicit-def: $vgpr28_vgpr29
                                        ; implicit-def: $vgpr24_vgpr25
                                        ; implicit-def: $vgpr20_vgpr21
                                        ; implicit-def: $vgpr16_vgpr17
                                        ; implicit-def: $vgpr12_vgpr13
	s_and_saveexec_b32 s4, vcc_lo
	s_cbranch_execz .LBB0_5
; %bb.4:
	ds_read_b128 v[8:11], v255
	ds_read_b128 v[32:35], v255 offset:624
	ds_read_b128 v[40:43], v255 offset:1248
	;; [unrolled: 1-line block ×16, first 2 shown]
.LBB0_5:
	s_or_b32 exec_lo, exec_lo, s4
	s_waitcnt lgkmcnt(0)
	v_add_f64 v[152:153], v[34:35], -v[14:15]
	s_mov_b32 s10, 0x5d8e7cdc
	s_mov_b32 s11, 0xbfd71e95
	v_add_f64 v[80:81], v[42:43], -v[18:19]
	s_mov_b32 s8, 0x2a9d6da3
	s_mov_b32 s9, 0xbfe58eea
	v_add_f64 v[78:79], v[40:41], -v[16:17]
	v_add_f64 v[146:147], v[32:33], v[12:13]
	s_mov_b32 s4, 0x370991
	s_mov_b32 s5, 0x3fedd6d0
	v_add_f64 v[76:77], v[40:41], v[16:17]
	v_add_f64 v[201:202], v[32:33], -v[12:13]
	s_mov_b32 s6, 0x75d4884
	s_mov_b32 s7, 0x3fe7a5f6
	v_add_f64 v[175:176], v[34:35], v[14:15]
	v_add_f64 v[86:87], v[42:43], v[18:19]
	v_add_f64 v[90:91], v[46:47], -v[22:23]
	s_mov_b32 s18, 0x7c9e640b
	s_mov_b32 s19, 0xbfeca52d
	v_add_f64 v[82:83], v[44:45], v[20:21]
	s_mov_b32 s16, 0x2b2883cd
	s_mov_b32 s17, 0x3fdc86fa
	v_mul_f64 v[0:1], v[152:153], s[10:11]
	v_add_f64 v[84:85], v[44:45], -v[20:21]
	v_add_f64 v[106:107], v[46:47], v[22:23]
	v_mul_f64 v[2:3], v[80:81], s[8:9]
	v_add_f64 v[116:117], v[50:51], -v[26:27]
	s_mov_b32 s22, 0xeb564b22
	v_mul_f64 v[4:5], v[78:79], s[8:9]
	s_mov_b32 s23, 0xbfefdd0d
	v_add_f64 v[88:89], v[48:49], v[24:25]
	s_mov_b32 s20, 0x3259b75e
	s_mov_b32 s21, 0x3fb79ee6
	v_mul_f64 v[177:178], v[201:202], s[10:11]
	v_add_f64 v[92:93], v[48:49], -v[24:25]
	v_add_f64 v[120:121], v[50:51], v[26:27]
	v_add_f64 v[118:119], v[58:59], -v[30:31]
	s_mov_b32 s38, 0x923c349f
	s_mov_b32 s39, 0x3feec746
	;; [unrolled: 1-line block ×4, first 2 shown]
	v_add_f64 v[94:95], v[56:57], v[28:29]
	s_mov_b32 s26, 0xc61f0d01
	s_mov_b32 s27, 0xbfd183b1
	buffer_store_dword v0, off, s[60:63], 0 offset:60 ; 4-byte Folded Spill
	buffer_store_dword v1, off, s[60:63], 0 offset:64 ; 4-byte Folded Spill
	;; [unrolled: 1-line block ×6, first 2 shown]
	v_add_f64 v[104:105], v[56:57], -v[28:29]
	v_add_f64 v[128:129], v[58:59], v[30:31]
	v_add_f64 v[124:125], v[62:63], -v[38:39]
	s_mov_b32 s44, 0x6c9a05f6
	s_mov_b32 s45, 0xbfe9895b
	v_add_f64 v[108:109], v[60:61], v[36:37]
	s_mov_b32 s24, 0x6ed5f1bb
	s_mov_b32 s25, 0xbfe348c8
	v_add_f64 v[110:111], v[60:61], -v[36:37]
	v_add_f64 v[132:133], v[62:63], v[38:39]
	v_add_f64 v[130:131], v[66:67], -v[54:55]
	s_mov_b32 s40, 0x4363dd80
	s_mov_b32 s41, 0x3fe0d888
	;; [unrolled: 1-line block ×4, first 2 shown]
	v_add_f64 v[112:113], v[64:65], v[52:53]
	v_add_f64 v[114:115], v[64:65], -v[52:53]
	s_mov_b32 s30, 0x910ea3b9
	s_mov_b32 s31, 0xbfeb34fa
	v_add_f64 v[136:137], v[66:67], v[54:55]
	v_add_f64 v[138:139], v[70:71], -v[74:75]
	s_mov_b32 s42, 0xacd6c6b4
	s_mov_b32 s43, 0xbfc7851a
	v_add_f64 v[122:123], v[68:69], v[72:73]
	v_add_f64 v[126:127], v[68:69], -v[72:73]
	s_mov_b32 s36, 0x7faef3
	s_mov_b32 s37, 0xbfef7484
	v_add_f64 v[140:141], v[70:71], v[74:75]
	v_mul_f64 v[154:155], v[152:153], s[8:9]
	v_mul_f64 v[173:174], v[80:81], s[22:23]
	v_mul_f64 v[156:157], v[201:202], s[8:9]
	v_mul_f64 v[185:186], v[78:79], s[22:23]
	v_mul_f64 v[179:180], v[90:91], s[44:45]
	v_mul_f64 v[195:196], v[84:85], s[44:45]
	v_mul_f64 v[183:184], v[116:117], s[42:43]
	v_mul_f64 v[199:200], v[92:93], s[42:43]
	v_mul_f64 v[187:188], v[118:119], s[40:41]
	v_mul_f64 v[203:204], v[104:105], s[40:41]
	v_mul_f64 v[169:170], v[114:115], s[34:35]
	v_mul_f64 v[189:190], v[124:125], s[38:39]
	v_mul_f64 v[209:210], v[110:111], s[38:39]
	s_mov_b32 s49, 0x3feca52d
	v_mul_f64 v[171:172], v[138:139], s[42:43]
	s_mov_b32 s48, s18
	s_mov_b32 s47, 0x3fd71e95
	v_mul_f64 v[191:192], v[130:131], s[48:49]
	v_mul_f64 v[181:182], v[126:127], s[42:43]
	;; [unrolled: 1-line block ×3, first 2 shown]
	s_mov_b32 s46, s10
	v_mul_f64 v[158:159], v[152:153], s[18:19]
	v_mul_f64 v[193:194], v[138:139], s[46:47]
	v_fma_f64 v[6:7], v[76:77], s[20:21], v[173:174]
	v_mul_f64 v[213:214], v[126:127], s[46:47]
	v_fma_f64 v[96:97], v[86:87], s[20:21], -v[185:186]
	v_mul_f64 v[197:198], v[80:81], s[44:45]
	v_mul_f64 v[160:161], v[201:202], s[18:19]
	;; [unrolled: 1-line block ×3, first 2 shown]
	s_mov_b32 s51, 0x3fc7851a
	s_mov_b32 s50, s42
	v_mul_f64 v[207:208], v[116:117], s[38:39]
	v_mul_f64 v[205:206], v[90:91], s[50:51]
	;; [unrolled: 1-line block ×4, first 2 shown]
	s_mov_b32 s53, 0x3fe58eea
	s_mov_b32 s52, s8
	v_mul_f64 v[221:222], v[124:125], s[10:11]
	v_mul_f64 v[219:220], v[118:119], s[52:53]
	;; [unrolled: 1-line block ×11, first 2 shown]
	v_fma_f64 v[98:99], v[76:77], s[24:25], v[197:198]
	v_mul_f64 v[249:250], v[78:79], s[42:43]
	v_fma_f64 v[100:101], v[86:87], s[24:25], -v[215:216]
	v_mul_f64 v[231:232], v[90:91], s[38:39]
	v_mul_f64 v[253:254], v[84:85], s[38:39]
	;; [unrolled: 1-line block ×8, first 2 shown]
	s_mov_b32 s55, 0x3fe9895b
	s_mov_b32 s54, s44
	v_mul_f64 v[247:248], v[138:139], s[52:53]
	v_mul_f64 v[245:246], v[130:131], s[54:55]
	v_fma_f64 v[102:103], v[76:77], s[36:37], v[217:218]
	v_fma_f64 v[134:135], v[86:87], s[36:37], -v[249:250]
	v_fma_f64 v[0:1], v[146:147], s[4:5], v[0:1]
	v_fma_f64 v[2:3], v[76:77], s[6:7], v[2:3]
	v_fma_f64 v[4:5], v[86:87], s[6:7], -v[4:5]
	v_add_f64 v[0:1], v[8:9], v[0:1]
	v_add_f64 v[0:1], v[2:3], v[0:1]
	v_fma_f64 v[2:3], v[175:176], s[4:5], -v[177:178]
	v_add_f64 v[2:3], v[10:11], v[2:3]
	v_add_f64 v[2:3], v[4:5], v[2:3]
	v_mul_f64 v[4:5], v[90:91], s[18:19]
	buffer_store_dword v4, off, s[60:63], 0 offset:44 ; 4-byte Folded Spill
	buffer_store_dword v5, off, s[60:63], 0 offset:48 ; 4-byte Folded Spill
	v_fma_f64 v[4:5], v[82:83], s[16:17], v[4:5]
	v_add_f64 v[0:1], v[4:5], v[0:1]
	v_mul_f64 v[4:5], v[84:85], s[18:19]
	buffer_store_dword v4, off, s[60:63], 0 offset:76 ; 4-byte Folded Spill
	buffer_store_dword v5, off, s[60:63], 0 offset:80 ; 4-byte Folded Spill
	v_fma_f64 v[4:5], v[106:107], s[16:17], -v[4:5]
	v_add_f64 v[2:3], v[4:5], v[2:3]
	v_mul_f64 v[4:5], v[116:117], s[22:23]
	buffer_store_dword v4, off, s[60:63], 0 offset:92 ; 4-byte Folded Spill
	buffer_store_dword v5, off, s[60:63], 0 offset:96 ; 4-byte Folded Spill
	v_fma_f64 v[4:5], v[88:89], s[20:21], v[4:5]
	v_add_f64 v[0:1], v[4:5], v[0:1]
	v_mul_f64 v[4:5], v[92:93], s[22:23]
	buffer_store_dword v4, off, s[60:63], 0 offset:108 ; 4-byte Folded Spill
	buffer_store_dword v5, off, s[60:63], 0 offset:112 ; 4-byte Folded Spill
	v_fma_f64 v[4:5], v[120:121], s[20:21], -v[4:5]
	;; [unrolled: 10-line block ×4, first 2 shown]
	v_add_f64 v[2:3], v[4:5], v[2:3]
	v_mul_f64 v[4:5], v[130:131], s[34:35]
	buffer_store_dword v4, off, s[60:63], 0 offset:172 ; 4-byte Folded Spill
	buffer_store_dword v5, off, s[60:63], 0 offset:176 ; 4-byte Folded Spill
	s_waitcnt_vscnt null, 0x0
	s_barrier
	buffer_gl0_inv
	v_fma_f64 v[4:5], v[112:113], s[30:31], v[4:5]
	v_add_f64 v[0:1], v[4:5], v[0:1]
	v_fma_f64 v[4:5], v[136:137], s[30:31], -v[169:170]
	v_add_f64 v[2:3], v[4:5], v[2:3]
	v_fma_f64 v[4:5], v[122:123], s[36:37], v[171:172]
	v_add_f64 v[0:1], v[4:5], v[0:1]
	v_fma_f64 v[4:5], v[140:141], s[36:37], -v[181:182]
	v_add_f64 v[2:3], v[4:5], v[2:3]
	v_fma_f64 v[4:5], v[146:147], s[6:7], v[154:155]
	v_add_f64 v[4:5], v[8:9], v[4:5]
	v_add_f64 v[4:5], v[6:7], v[4:5]
	v_fma_f64 v[6:7], v[175:176], s[6:7], -v[156:157]
	v_add_f64 v[6:7], v[10:11], v[6:7]
	v_add_f64 v[6:7], v[96:97], v[6:7]
	v_fma_f64 v[96:97], v[82:83], s[24:25], v[179:180]
	v_add_f64 v[4:5], v[96:97], v[4:5]
	v_fma_f64 v[96:97], v[106:107], s[24:25], -v[195:196]
	v_add_f64 v[6:7], v[96:97], v[6:7]
	v_fma_f64 v[96:97], v[88:89], s[36:37], v[183:184]
	v_add_f64 v[4:5], v[96:97], v[4:5]
	v_fma_f64 v[96:97], v[120:121], s[36:37], -v[199:200]
	v_add_f64 v[6:7], v[96:97], v[6:7]
	v_fma_f64 v[96:97], v[94:95], s[30:31], v[187:188]
	v_add_f64 v[4:5], v[96:97], v[4:5]
	v_fma_f64 v[96:97], v[128:129], s[30:31], -v[203:204]
	v_add_f64 v[6:7], v[96:97], v[6:7]
	v_fma_f64 v[96:97], v[108:109], s[26:27], v[189:190]
	v_add_f64 v[4:5], v[96:97], v[4:5]
	v_fma_f64 v[96:97], v[132:133], s[26:27], -v[209:210]
	v_add_f64 v[6:7], v[96:97], v[6:7]
	v_fma_f64 v[96:97], v[112:113], s[16:17], v[191:192]
	v_add_f64 v[4:5], v[96:97], v[4:5]
	v_fma_f64 v[96:97], v[136:137], s[16:17], -v[211:212]
	v_add_f64 v[6:7], v[96:97], v[6:7]
	v_fma_f64 v[96:97], v[122:123], s[4:5], v[193:194]
	v_add_f64 v[4:5], v[96:97], v[4:5]
	v_fma_f64 v[96:97], v[140:141], s[4:5], -v[213:214]
	v_add_f64 v[6:7], v[96:97], v[6:7]
	v_fma_f64 v[96:97], v[146:147], s[16:17], v[158:159]
	v_add_f64 v[96:97], v[8:9], v[96:97]
	v_add_f64 v[96:97], v[98:99], v[96:97]
	v_fma_f64 v[98:99], v[175:176], s[16:17], -v[160:161]
	v_add_f64 v[98:99], v[10:11], v[98:99]
	v_add_f64 v[98:99], v[100:101], v[98:99]
	v_fma_f64 v[100:101], v[82:83], s[36:37], v[205:206]
	v_add_f64 v[96:97], v[100:101], v[96:97]
	v_fma_f64 v[100:101], v[106:107], s[36:37], -v[227:228]
	v_add_f64 v[98:99], v[100:101], v[98:99]
	v_fma_f64 v[100:101], v[88:89], s[26:27], v[207:208]
	v_add_f64 v[96:97], v[100:101], v[96:97]
	v_fma_f64 v[100:101], v[120:121], s[26:27], -v[229:230]
	v_add_f64 v[98:99], v[100:101], v[98:99]
	v_fma_f64 v[100:101], v[94:95], s[6:7], v[219:220]
	v_add_f64 v[96:97], v[100:101], v[96:97]
	v_fma_f64 v[100:101], v[128:129], s[6:7], -v[150:151]
	v_add_f64 v[98:99], v[100:101], v[98:99]
	v_fma_f64 v[100:101], v[108:109], s[4:5], v[221:222]
	v_add_f64 v[96:97], v[100:101], v[96:97]
	v_fma_f64 v[100:101], v[132:133], s[4:5], -v[235:236]
	v_add_f64 v[98:99], v[100:101], v[98:99]
	;; [unrolled: 30-line block ×3, first 2 shown]
	v_fma_f64 v[134:135], v[112:113], s[24:25], v[245:246]
	v_add_f64 v[100:101], v[134:135], v[100:101]
	v_mul_f64 v[134:135], v[114:115], s[54:55]
	v_fma_f64 v[148:149], v[136:137], s[24:25], -v[134:135]
	v_add_f64 v[102:103], v[148:149], v[102:103]
	v_fma_f64 v[148:149], v[122:123], s[6:7], v[247:248]
	v_add_f64 v[100:101], v[148:149], v[100:101]
	v_mul_f64 v[148:149], v[126:127], s[52:53]
	v_fma_f64 v[166:167], v[140:141], s[6:7], -v[148:149]
	v_add_f64 v[102:103], v[166:167], v[102:103]
	s_and_saveexec_b32 s33, vcc_lo
	s_cbranch_execz .LBB0_7
; %bb.6:
	v_add_f64 v[32:33], v[8:9], v[32:33]
	v_add_f64 v[34:35], v[10:11], v[34:35]
	s_mov_b32 s57, 0x3fefdd0d
	s_mov_b32 s56, s22
	v_add_f64 v[32:33], v[32:33], v[40:41]
	v_add_f64 v[34:35], v[34:35], v[42:43]
	v_mul_f64 v[42:43], v[146:147], s[6:7]
	v_mul_f64 v[40:41], v[175:176], s[6:7]
	v_add_f64 v[32:33], v[32:33], v[44:45]
	v_add_f64 v[34:35], v[34:35], v[46:47]
	v_mul_f64 v[46:47], v[152:153], s[42:43]
	v_add_f64 v[42:43], v[42:43], -v[154:155]
	v_mul_f64 v[44:45], v[175:176], s[4:5]
	v_add_f64 v[40:41], v[156:157], v[40:41]
	v_add_f64 v[32:33], v[32:33], v[48:49]
	;; [unrolled: 1-line block ×3, first 2 shown]
	v_mul_f64 v[48:49], v[152:153], s[34:35]
	v_mul_f64 v[50:51], v[152:153], s[44:45]
	v_add_f64 v[44:45], v[177:178], v[44:45]
	v_add_f64 v[32:33], v[32:33], v[56:57]
	;; [unrolled: 1-line block ×3, first 2 shown]
	v_fma_f64 v[56:57], v[146:147], s[30:31], v[48:49]
	v_fma_f64 v[48:49], v[146:147], s[30:31], -v[48:49]
	v_fma_f64 v[58:59], v[146:147], s[24:25], v[50:51]
	v_fma_f64 v[50:51], v[146:147], s[24:25], -v[50:51]
	v_add_f64 v[32:33], v[32:33], v[60:61]
	v_add_f64 v[34:35], v[34:35], v[62:63]
	v_mul_f64 v[62:63], v[146:147], s[4:5]
	v_add_f64 v[56:57], v[8:9], v[56:57]
	v_add_f64 v[48:49], v[8:9], v[48:49]
	;; [unrolled: 1-line block ×5, first 2 shown]
	s_clause 0x1
	buffer_load_dword v64, off, s[60:63], 0 offset:60
	buffer_load_dword v65, off, s[60:63], 0 offset:64
	v_add_f64 v[34:35], v[34:35], v[66:67]
	v_add_f64 v[32:33], v[32:33], v[68:69]
	;; [unrolled: 1-line block ×6, first 2 shown]
	v_mul_f64 v[52:53], v[152:153], s[28:29]
	v_add_f64 v[34:35], v[34:35], v[54:55]
	v_fma_f64 v[54:55], v[146:147], s[36:37], v[46:47]
	v_fma_f64 v[46:47], v[146:147], s[36:37], -v[46:47]
	v_add_f64 v[32:33], v[32:33], v[36:37]
	v_fma_f64 v[60:61], v[146:147], s[26:27], v[52:53]
	v_add_f64 v[34:35], v[34:35], v[38:39]
	v_mul_f64 v[38:39], v[146:147], s[16:17]
	v_fma_f64 v[52:53], v[146:147], s[26:27], -v[52:53]
	v_mul_f64 v[36:37], v[175:176], s[16:17]
	v_add_f64 v[54:55], v[8:9], v[54:55]
	v_add_f64 v[46:47], v[8:9], v[46:47]
	v_add_f64 v[28:29], v[32:33], v[28:29]
	v_mul_f64 v[32:33], v[175:176], s[20:21]
	v_add_f64 v[30:31], v[34:35], v[30:31]
	v_mul_f64 v[34:35], v[146:147], s[20:21]
	v_add_f64 v[38:39], v[38:39], -v[158:159]
	v_add_f64 v[60:61], v[8:9], v[60:61]
	v_add_f64 v[52:53], v[8:9], v[52:53]
	;; [unrolled: 1-line block ×3, first 2 shown]
	v_mul_f64 v[160:161], v[140:141], s[20:21]
	v_add_f64 v[24:25], v[28:29], v[24:25]
	v_mul_f64 v[28:29], v[175:176], s[26:27]
	v_add_f64 v[26:27], v[30:31], v[26:27]
	v_add_f64 v[34:35], v[34:35], -v[162:163]
	v_add_f64 v[38:39], v[8:9], v[38:39]
	v_add_f64 v[32:33], v[164:165], v[32:33]
	v_mul_f64 v[162:163], v[138:139], s[56:57]
	v_add_f64 v[36:37], v[10:11], v[36:37]
	v_add_f64 v[20:21], v[24:25], v[20:21]
	v_mul_f64 v[24:25], v[175:176], s[24:25]
	v_add_f64 v[22:23], v[26:27], v[22:23]
	v_fma_f64 v[30:31], v[201:202], s[38:39], v[28:29]
	v_add_f64 v[146:147], v[8:9], v[34:35]
	v_add_f64 v[34:35], v[8:9], v[42:43]
	v_fma_f64 v[28:29], v[201:202], s[28:29], v[28:29]
	v_add_f64 v[74:75], v[10:11], v[32:33]
	v_add_f64 v[32:33], v[10:11], v[40:41]
	;; [unrolled: 1-line block ×3, first 2 shown]
	v_mul_f64 v[20:21], v[175:176], s[30:31]
	v_add_f64 v[18:19], v[22:23], v[18:19]
	v_fma_f64 v[26:27], v[201:202], s[54:55], v[24:25]
	v_fma_f64 v[24:25], v[201:202], s[44:45], v[24:25]
	v_add_f64 v[70:71], v[10:11], v[30:31]
	v_add_f64 v[72:73], v[10:11], v[28:29]
	;; [unrolled: 1-line block ×4, first 2 shown]
	v_mul_f64 v[16:17], v[175:176], s[36:37]
	v_fma_f64 v[22:23], v[201:202], s[40:41], v[20:21]
	v_fma_f64 v[20:21], v[201:202], s[34:35], v[20:21]
	v_add_f64 v[14:15], v[18:19], v[14:15]
	v_add_f64 v[68:69], v[10:11], v[24:25]
	v_mul_f64 v[24:25], v[106:107], s[30:31]
	v_add_f64 v[66:67], v[10:11], v[26:27]
	v_fma_f64 v[18:19], v[201:202], s[50:51], v[16:17]
	v_fma_f64 v[16:17], v[201:202], s[42:43], v[16:17]
	v_add_f64 v[22:23], v[10:11], v[22:23]
	v_fma_f64 v[26:27], v[84:85], s[40:41], v[24:25]
	v_add_f64 v[18:19], v[10:11], v[18:19]
	v_add_f64 v[16:17], v[10:11], v[16:17]
	s_waitcnt vmcnt(0)
	v_add_f64 v[62:63], v[62:63], -v[64:65]
	v_add_f64 v[64:65], v[10:11], v[20:21]
	v_mul_f64 v[20:21], v[86:87], s[4:5]
	v_add_f64 v[30:31], v[8:9], v[62:63]
	v_fma_f64 v[8:9], v[78:79], s[10:11], v[20:21]
	v_fma_f64 v[20:21], v[78:79], s[46:47], v[20:21]
	v_add_f64 v[8:9], v[8:9], v[18:19]
	v_mul_f64 v[18:19], v[80:81], s[46:47]
	v_add_f64 v[16:17], v[20:21], v[16:17]
	v_fma_f64 v[20:21], v[84:85], s[34:35], v[24:25]
	v_fma_f64 v[24:25], v[122:123], s[20:21], -v[162:163]
	v_add_f64 v[8:9], v[26:27], v[8:9]
	v_fma_f64 v[10:11], v[76:77], s[4:5], v[18:19]
	v_mul_f64 v[26:27], v[90:91], s[34:35]
	v_fma_f64 v[18:19], v[76:77], s[4:5], -v[18:19]
	v_add_f64 v[16:17], v[20:21], v[16:17]
	v_add_f64 v[10:11], v[10:11], v[54:55]
	v_fma_f64 v[40:41], v[82:83], s[30:31], v[26:27]
	v_add_f64 v[18:19], v[18:19], v[46:47]
	v_fma_f64 v[20:21], v[82:83], s[30:31], -v[26:27]
	v_mul_f64 v[26:27], v[80:81], s[48:49]
	v_add_f64 v[10:11], v[40:41], v[10:11]
	v_mul_f64 v[40:41], v[120:121], s[6:7]
	v_add_f64 v[18:19], v[20:21], v[18:19]
	v_fma_f64 v[42:43], v[92:93], s[8:9], v[40:41]
	v_fma_f64 v[20:21], v[92:93], s[52:53], v[40:41]
	v_mul_f64 v[40:41], v[106:107], s[20:21]
	v_add_f64 v[8:9], v[42:43], v[8:9]
	v_mul_f64 v[42:43], v[116:117], s[52:53]
	v_add_f64 v[16:17], v[20:21], v[16:17]
	v_fma_f64 v[44:45], v[88:89], s[6:7], v[42:43]
	v_fma_f64 v[20:21], v[88:89], s[6:7], -v[42:43]
	v_fma_f64 v[42:43], v[84:85], s[56:57], v[40:41]
	v_fma_f64 v[40:41], v[84:85], s[22:23], v[40:41]
	v_add_f64 v[10:11], v[44:45], v[10:11]
	v_mul_f64 v[44:45], v[128:129], s[24:25]
	v_add_f64 v[18:19], v[20:21], v[18:19]
	v_fma_f64 v[54:55], v[104:105], s[54:55], v[44:45]
	v_fma_f64 v[20:21], v[104:105], s[44:45], v[44:45]
	v_add_f64 v[8:9], v[54:55], v[8:9]
	v_mul_f64 v[54:55], v[118:119], s[44:45]
	v_add_f64 v[16:17], v[20:21], v[16:17]
	v_fma_f64 v[62:63], v[94:95], s[24:25], v[54:55]
	v_fma_f64 v[20:21], v[94:95], s[24:25], -v[54:55]
	v_add_f64 v[10:11], v[62:63], v[10:11]
	v_mul_f64 v[62:63], v[132:133], s[16:17]
	v_add_f64 v[18:19], v[20:21], v[18:19]
	v_fma_f64 v[152:153], v[110:111], s[18:19], v[62:63]
	v_fma_f64 v[20:21], v[110:111], s[48:49], v[62:63]
	v_add_f64 v[8:9], v[152:153], v[8:9]
	v_mul_f64 v[152:153], v[124:125], s[48:49]
	v_add_f64 v[16:17], v[20:21], v[16:17]
	v_fma_f64 v[154:155], v[108:109], s[16:17], v[152:153]
	v_fma_f64 v[20:21], v[108:109], s[16:17], -v[152:153]
	v_add_f64 v[10:11], v[154:155], v[10:11]
	v_mul_f64 v[154:155], v[136:137], s[26:27]
	v_add_f64 v[18:19], v[20:21], v[18:19]
	v_fma_f64 v[156:157], v[114:115], s[38:39], v[154:155]
	v_fma_f64 v[20:21], v[114:115], s[28:29], v[154:155]
	v_add_f64 v[8:9], v[156:157], v[8:9]
	v_mul_f64 v[156:157], v[130:131], s[28:29]
	v_add_f64 v[16:17], v[20:21], v[16:17]
	v_fma_f64 v[20:21], v[112:113], s[26:27], -v[156:157]
	v_fma_f64 v[158:159], v[112:113], s[26:27], v[156:157]
	v_add_f64 v[20:21], v[20:21], v[18:19]
	v_fma_f64 v[18:19], v[126:127], s[56:57], v[160:161]
	v_add_f64 v[158:159], v[158:159], v[10:11]
	v_fma_f64 v[10:11], v[126:127], s[22:23], v[160:161]
	v_mul_f64 v[160:161], v[140:141], s[26:27]
	v_add_f64 v[18:19], v[18:19], v[16:17]
	v_add_f64 v[16:17], v[24:25], v[20:21]
	v_mul_f64 v[24:25], v[86:87], s[16:17]
	v_add_f64 v[10:11], v[10:11], v[8:9]
	v_fma_f64 v[8:9], v[122:123], s[20:21], v[162:163]
	v_mul_f64 v[162:163], v[138:139], s[28:29]
	v_fma_f64 v[20:21], v[78:79], s[18:19], v[24:25]
	v_fma_f64 v[24:25], v[78:79], s[48:49], v[24:25]
	v_add_f64 v[8:9], v[8:9], v[158:159]
	v_add_f64 v[20:21], v[20:21], v[22:23]
	v_fma_f64 v[22:23], v[76:77], s[16:17], v[26:27]
	v_add_f64 v[24:25], v[24:25], v[64:65]
	v_fma_f64 v[26:27], v[76:77], s[16:17], -v[26:27]
	v_add_f64 v[20:21], v[42:43], v[20:21]
	v_mul_f64 v[42:43], v[90:91], s[22:23]
	v_add_f64 v[22:23], v[22:23], v[56:57]
	v_add_f64 v[26:27], v[26:27], v[48:49]
	;; [unrolled: 1-line block ×3, first 2 shown]
	v_fma_f64 v[44:45], v[82:83], s[20:21], v[42:43]
	v_fma_f64 v[40:41], v[82:83], s[20:21], -v[42:43]
	v_fma_f64 v[42:43], v[122:123], s[26:27], -v[162:163]
	v_add_f64 v[22:23], v[44:45], v[22:23]
	v_mul_f64 v[44:45], v[120:121], s[24:25]
	v_add_f64 v[26:27], v[40:41], v[26:27]
	v_fma_f64 v[46:47], v[92:93], s[44:45], v[44:45]
	v_fma_f64 v[40:41], v[92:93], s[54:55], v[44:45]
	v_add_f64 v[20:21], v[46:47], v[20:21]
	v_mul_f64 v[46:47], v[116:117], s[54:55]
	v_add_f64 v[24:25], v[40:41], v[24:25]
	v_fma_f64 v[54:55], v[88:89], s[24:25], v[46:47]
	v_fma_f64 v[40:41], v[88:89], s[24:25], -v[46:47]
	v_add_f64 v[22:23], v[54:55], v[22:23]
	v_mul_f64 v[54:55], v[128:129], s[4:5]
	v_add_f64 v[26:27], v[40:41], v[26:27]
	v_fma_f64 v[56:57], v[104:105], s[46:47], v[54:55]
	v_fma_f64 v[40:41], v[104:105], s[10:11], v[54:55]
	v_add_f64 v[20:21], v[56:57], v[20:21]
	v_mul_f64 v[56:57], v[118:119], s[10:11]
	v_add_f64 v[24:25], v[40:41], v[24:25]
	v_fma_f64 v[62:63], v[94:95], s[4:5], v[56:57]
	;; [unrolled: 10-line block ×3, first 2 shown]
	v_fma_f64 v[40:41], v[108:109], s[36:37], -v[152:153]
	v_add_f64 v[22:23], v[154:155], v[22:23]
	v_mul_f64 v[154:155], v[136:137], s[6:7]
	v_add_f64 v[26:27], v[40:41], v[26:27]
	v_fma_f64 v[156:157], v[114:115], s[8:9], v[154:155]
	v_fma_f64 v[40:41], v[114:115], s[52:53], v[154:155]
	v_mul_f64 v[154:155], v[140:141], s[24:25]
	v_add_f64 v[20:21], v[156:157], v[20:21]
	v_mul_f64 v[156:157], v[130:131], s[52:53]
	v_add_f64 v[24:25], v[40:41], v[24:25]
	v_fma_f64 v[40:41], v[112:113], s[6:7], -v[156:157]
	v_fma_f64 v[158:159], v[112:113], s[6:7], v[156:157]
	v_mul_f64 v[156:157], v[138:139], s[44:45]
	v_add_f64 v[40:41], v[40:41], v[26:27]
	v_fma_f64 v[26:27], v[126:127], s[28:29], v[160:161]
	v_add_f64 v[158:159], v[158:159], v[22:23]
	v_fma_f64 v[22:23], v[126:127], s[38:39], v[160:161]
	v_add_f64 v[26:27], v[26:27], v[24:25]
	v_add_f64 v[24:25], v[42:43], v[40:41]
	s_clause 0x7
	buffer_load_dword v42, off, s[60:63], 0 offset:28
	buffer_load_dword v43, off, s[60:63], 0 offset:32
	;; [unrolled: 1-line block ×8, first 2 shown]
	v_mul_f64 v[40:41], v[86:87], s[6:7]
	s_clause 0x9
	buffer_load_dword v54, off, s[60:63], 0 offset:108
	buffer_load_dword v55, off, s[60:63], 0 offset:112
	;; [unrolled: 1-line block ×10, first 2 shown]
	v_add_f64 v[22:23], v[22:23], v[20:21]
	v_fma_f64 v[20:21], v[122:123], s[26:27], v[162:163]
	v_add_f64 v[20:21], v[20:21], v[158:159]
	s_waitcnt vmcnt(16)
	v_add_f64 v[40:41], v[42:43], v[40:41]
	v_mul_f64 v[42:43], v[76:77], s[6:7]
	v_add_f64 v[28:29], v[40:41], v[28:29]
	s_waitcnt vmcnt(14)
	v_add_f64 v[42:43], v[42:43], -v[44:45]
	v_mul_f64 v[44:45], v[106:107], s[16:17]
	v_mul_f64 v[40:41], v[108:109], s[24:25]
	v_add_f64 v[30:31], v[42:43], v[30:31]
	s_waitcnt vmcnt(12)
	v_add_f64 v[44:45], v[46:47], v[44:45]
	v_mul_f64 v[46:47], v[82:83], s[16:17]
	s_clause 0x1
	buffer_load_dword v42, off, s[60:63], 0 offset:156
	buffer_load_dword v43, off, s[60:63], 0 offset:160
	v_add_f64 v[28:29], v[44:45], v[28:29]
	s_waitcnt vmcnt(12)
	v_add_f64 v[46:47], v[46:47], -v[48:49]
	v_mul_f64 v[48:49], v[120:121], s[20:21]
	v_mul_f64 v[44:45], v[112:113], s[30:31]
	v_add_f64 v[30:31], v[46:47], v[30:31]
	s_clause 0x1
	buffer_load_dword v46, off, s[60:63], 0 offset:172
	buffer_load_dword v47, off, s[60:63], 0 offset:176
	s_waitcnt vmcnt(12)
	v_add_f64 v[48:49], v[54:55], v[48:49]
	v_mul_f64 v[54:55], v[88:89], s[20:21]
	v_add_f64 v[28:29], v[48:49], v[28:29]
	s_waitcnt vmcnt(10)
	v_add_f64 v[54:55], v[54:55], -v[56:57]
	v_mul_f64 v[56:57], v[128:129], s[26:27]
	v_mul_f64 v[48:49], v[120:121], s[36:37]
	v_add_f64 v[30:31], v[54:55], v[30:31]
	s_waitcnt vmcnt(8)
	v_add_f64 v[56:57], v[62:63], v[56:57]
	v_mul_f64 v[62:63], v[94:95], s[26:27]
	v_mul_f64 v[54:55], v[88:89], s[36:37]
	v_add_f64 v[48:49], v[199:200], v[48:49]
	v_add_f64 v[28:29], v[56:57], v[28:29]
	s_waitcnt vmcnt(6)
	v_add_f64 v[62:63], v[62:63], -v[64:65]
	v_mul_f64 v[64:65], v[132:133], s[24:25]
	v_add_f64 v[54:55], v[54:55], -v[183:184]
	v_mul_f64 v[56:57], v[128:129], s[30:31]
	v_add_f64 v[30:31], v[62:63], v[30:31]
	s_waitcnt vmcnt(4)
	v_add_f64 v[64:65], v[152:153], v[64:65]
	v_mul_f64 v[62:63], v[94:95], s[30:31]
	v_add_f64 v[56:57], v[203:204], v[56:57]
	v_mul_f64 v[152:153], v[130:131], s[10:11]
	v_add_f64 v[28:29], v[64:65], v[28:29]
	v_add_f64 v[62:63], v[62:63], -v[187:188]
	v_mul_f64 v[64:65], v[132:133], s[26:27]
	v_add_f64 v[64:65], v[209:210], v[64:65]
	s_waitcnt vmcnt(2)
	v_add_f64 v[40:41], v[40:41], -v[42:43]
	v_mul_f64 v[42:43], v[136:137], s[30:31]
	v_add_f64 v[30:31], v[40:41], v[30:31]
	v_add_f64 v[42:43], v[169:170], v[42:43]
	v_mul_f64 v[40:41], v[122:123], s[36:37]
	s_waitcnt vmcnt(0)
	v_add_f64 v[44:45], v[44:45], -v[46:47]
	v_mul_f64 v[46:47], v[140:141], s[36:37]
	v_add_f64 v[40:41], v[40:41], -v[171:172]
	v_add_f64 v[28:29], v[42:43], v[28:29]
	v_add_f64 v[42:43], v[44:45], v[30:31]
	;; [unrolled: 1-line block ×3, first 2 shown]
	v_mul_f64 v[44:45], v[106:107], s[24:25]
	v_add_f64 v[30:31], v[46:47], v[28:29]
	v_add_f64 v[28:29], v[40:41], v[42:43]
	v_mul_f64 v[40:41], v[86:87], s[20:21]
	v_mul_f64 v[42:43], v[76:77], s[20:21]
	;; [unrolled: 1-line block ×3, first 2 shown]
	v_add_f64 v[44:45], v[195:196], v[44:45]
	v_add_f64 v[40:41], v[185:186], v[40:41]
	v_add_f64 v[42:43], v[42:43], -v[173:174]
	v_add_f64 v[46:47], v[46:47], -v[179:180]
	v_add_f64 v[32:33], v[40:41], v[32:33]
	v_add_f64 v[34:35], v[42:43], v[34:35]
	v_mul_f64 v[40:41], v[108:109], s[26:27]
	v_mul_f64 v[42:43], v[136:137], s[16:17]
	v_add_f64 v[32:33], v[44:45], v[32:33]
	v_add_f64 v[34:35], v[46:47], v[34:35]
	v_add_f64 v[40:41], v[40:41], -v[189:190]
	v_mul_f64 v[44:45], v[112:113], s[16:17]
	v_add_f64 v[42:43], v[211:212], v[42:43]
	v_mul_f64 v[46:47], v[140:141], s[4:5]
	v_add_f64 v[32:33], v[48:49], v[32:33]
	v_add_f64 v[34:35], v[54:55], v[34:35]
	v_mul_f64 v[48:49], v[128:129], s[16:17]
	v_add_f64 v[44:45], v[44:45], -v[191:192]
	v_mul_f64 v[54:55], v[106:107], s[4:5]
	v_add_f64 v[46:47], v[213:214], v[46:47]
	v_add_f64 v[32:33], v[56:57], v[32:33]
	;; [unrolled: 1-line block ×4, first 2 shown]
	v_mul_f64 v[56:57], v[86:87], s[30:31]
	v_mul_f64 v[62:63], v[106:107], s[6:7]
	;; [unrolled: 1-line block ×4, first 2 shown]
	v_add_f64 v[32:33], v[64:65], v[32:33]
	v_add_f64 v[34:35], v[40:41], v[34:35]
	v_mul_f64 v[40:41], v[122:123], s[4:5]
	v_mul_f64 v[64:65], v[120:121], s[16:17]
	v_add_f64 v[32:33], v[42:43], v[32:33]
	v_add_f64 v[42:43], v[44:45], v[34:35]
	v_add_f64 v[40:41], v[40:41], -v[193:194]
	v_mul_f64 v[44:45], v[128:129], s[6:7]
	v_add_f64 v[34:35], v[46:47], v[32:33]
	v_mul_f64 v[46:47], v[106:107], s[36:37]
	v_add_f64 v[32:33], v[40:41], v[42:43]
	v_mul_f64 v[40:41], v[86:87], s[24:25]
	v_mul_f64 v[42:43], v[76:77], s[24:25]
	v_add_f64 v[44:45], v[150:151], v[44:45]
	v_mul_f64 v[150:151], v[136:137], s[4:5]
	v_add_f64 v[46:47], v[227:228], v[46:47]
	v_add_f64 v[40:41], v[215:216], v[40:41]
	v_add_f64 v[42:43], v[42:43], -v[197:198]
	v_add_f64 v[36:37], v[40:41], v[36:37]
	v_mul_f64 v[40:41], v[82:83], s[36:37]
	v_add_f64 v[38:39], v[42:43], v[38:39]
	v_mul_f64 v[42:43], v[120:121], s[26:27]
	v_add_f64 v[36:37], v[46:47], v[36:37]
	v_add_f64 v[40:41], v[40:41], -v[205:206]
	v_mul_f64 v[46:47], v[88:89], s[26:27]
	v_add_f64 v[42:43], v[229:230], v[42:43]
	v_add_f64 v[38:39], v[40:41], v[38:39]
	v_add_f64 v[46:47], v[46:47], -v[207:208]
	v_mul_f64 v[40:41], v[94:95], s[6:7]
	v_add_f64 v[36:37], v[42:43], v[36:37]
	v_mul_f64 v[42:43], v[132:133], s[4:5]
	v_add_f64 v[38:39], v[46:47], v[38:39]
	v_add_f64 v[40:41], v[40:41], -v[219:220]
	v_add_f64 v[36:37], v[44:45], v[36:37]
	v_add_f64 v[42:43], v[235:236], v[42:43]
	v_mul_f64 v[44:45], v[108:109], s[4:5]
	v_mul_f64 v[46:47], v[120:121], s[4:5]
	v_add_f64 v[38:39], v[40:41], v[38:39]
	v_mul_f64 v[40:41], v[136:137], s[20:21]
	v_add_f64 v[36:37], v[42:43], v[36:37]
	v_add_f64 v[44:45], v[44:45], -v[221:222]
	v_mul_f64 v[42:43], v[112:113], s[20:21]
	v_add_f64 v[46:47], v[142:143], v[46:47]
	v_mul_f64 v[142:143], v[128:129], s[36:37]
	v_add_f64 v[40:41], v[237:238], v[40:41]
	v_add_f64 v[38:39], v[44:45], v[38:39]
	v_add_f64 v[42:43], v[42:43], -v[223:224]
	v_mul_f64 v[44:45], v[140:141], s[30:31]
	v_add_f64 v[36:37], v[40:41], v[36:37]
	v_mul_f64 v[40:41], v[122:123], s[30:31]
	v_add_f64 v[42:43], v[42:43], v[38:39]
	v_add_f64 v[44:45], v[243:244], v[44:45]
	v_add_f64 v[40:41], v[40:41], -v[225:226]
	v_add_f64 v[38:39], v[44:45], v[36:37]
	v_mul_f64 v[44:45], v[76:77], s[36:37]
	v_add_f64 v[36:37], v[40:41], v[42:43]
	v_mul_f64 v[40:41], v[86:87], s[36:37]
	v_mul_f64 v[42:43], v[106:107], s[26:27]
	v_add_f64 v[44:45], v[44:45], -v[217:218]
	v_add_f64 v[40:41], v[249:250], v[40:41]
	v_add_f64 v[42:43], v[253:254], v[42:43]
	;; [unrolled: 1-line block ×3, first 2 shown]
	v_mul_f64 v[146:147], v[132:133], s[20:21]
	v_add_f64 v[40:41], v[40:41], v[74:75]
	v_mul_f64 v[74:75], v[90:91], s[52:53]
	v_mul_f64 v[90:91], v[90:91], s[10:11]
	v_add_f64 v[40:41], v[42:43], v[40:41]
	v_mul_f64 v[42:43], v[82:83], s[26:27]
	v_add_f64 v[40:41], v[46:47], v[40:41]
	v_add_f64 v[42:43], v[42:43], -v[231:232]
	v_mul_f64 v[46:47], v[88:89], s[4:5]
	v_add_f64 v[40:41], v[48:49], v[40:41]
	v_add_f64 v[42:43], v[42:43], v[44:45]
	v_add_f64 v[46:47], v[46:47], -v[233:234]
	v_mul_f64 v[44:45], v[94:95], s[16:17]
	v_mul_f64 v[48:49], v[108:109], s[30:31]
	v_add_f64 v[42:43], v[46:47], v[42:43]
	v_add_f64 v[44:45], v[44:45], -v[239:240]
	v_mul_f64 v[46:47], v[132:133], s[30:31]
	v_add_f64 v[48:49], v[48:49], -v[241:242]
	v_add_f64 v[42:43], v[44:45], v[42:43]
	v_add_f64 v[46:47], v[251:252], v[46:47]
	v_mul_f64 v[44:45], v[136:137], s[24:25]
	v_add_f64 v[42:43], v[48:49], v[42:43]
	v_add_f64 v[40:41], v[46:47], v[40:41]
	;; [unrolled: 1-line block ×3, first 2 shown]
	v_mul_f64 v[46:47], v[112:113], s[24:25]
	v_mul_f64 v[48:49], v[140:141], s[6:7]
	;; [unrolled: 1-line block ×4, first 2 shown]
	v_add_f64 v[40:41], v[44:45], v[40:41]
	v_add_f64 v[46:47], v[46:47], -v[245:246]
	v_mul_f64 v[44:45], v[122:123], s[6:7]
	v_add_f64 v[48:49], v[148:149], v[48:49]
	v_mul_f64 v[148:149], v[124:125], s[56:57]
	v_mul_f64 v[124:125], v[124:125], s[8:9]
	v_add_f64 v[46:47], v[46:47], v[42:43]
	v_add_f64 v[44:45], v[44:45], -v[247:248]
	v_add_f64 v[42:43], v[48:49], v[40:41]
	v_fma_f64 v[48:49], v[82:83], s[6:7], -v[74:75]
	v_add_f64 v[40:41], v[44:45], v[46:47]
	v_fma_f64 v[44:45], v[78:79], s[40:41], v[56:57]
	v_fma_f64 v[46:47], v[84:85], s[52:53], v[62:63]
	;; [unrolled: 1-line block ×4, first 2 shown]
	v_add_f64 v[44:45], v[44:45], v[72:73]
	v_mul_f64 v[72:73], v[80:81], s[40:41]
	v_mul_f64 v[80:81], v[80:81], s[38:39]
	v_add_f64 v[56:57], v[56:57], v[70:71]
	v_add_f64 v[44:45], v[46:47], v[44:45]
	v_fma_f64 v[46:47], v[92:93], s[18:19], v[64:65]
	v_add_f64 v[56:57], v[62:63], v[56:57]
	v_fma_f64 v[62:63], v[92:93], s[48:49], v[64:65]
	v_fma_f64 v[64:65], v[126:127], s[54:55], v[154:155]
	v_add_f64 v[44:45], v[46:47], v[44:45]
	v_fma_f64 v[46:47], v[76:77], s[30:31], -v[72:73]
	v_add_f64 v[56:57], v[62:63], v[56:57]
	v_fma_f64 v[62:63], v[104:105], s[50:51], v[142:143]
	v_add_f64 v[46:47], v[46:47], v[52:53]
	v_mul_f64 v[52:53], v[86:87], s[26:27]
	v_add_f64 v[56:57], v[62:63], v[56:57]
	v_fma_f64 v[62:63], v[110:111], s[22:23], v[146:147]
	v_add_f64 v[46:47], v[48:49], v[46:47]
	v_fma_f64 v[48:49], v[88:89], s[16:17], -v[134:135]
	v_add_f64 v[56:57], v[62:63], v[56:57]
	v_fma_f64 v[62:63], v[114:115], s[46:47], v[150:151]
	v_add_f64 v[46:47], v[48:49], v[46:47]
	v_fma_f64 v[48:49], v[104:105], s[42:43], v[142:143]
	;; [unrolled: 2-line block ×3, first 2 shown]
	v_add_f64 v[44:45], v[48:49], v[44:45]
	v_fma_f64 v[48:49], v[94:95], s[36:37], -v[144:145]
	v_add_f64 v[46:47], v[48:49], v[46:47]
	v_fma_f64 v[48:49], v[110:111], s[56:57], v[146:147]
	v_add_f64 v[44:45], v[48:49], v[44:45]
	v_fma_f64 v[48:49], v[108:109], s[20:21], -v[148:149]
	v_add_f64 v[46:47], v[48:49], v[46:47]
	v_fma_f64 v[48:49], v[114:115], s[10:11], v[150:151]
	v_add_f64 v[44:45], v[48:49], v[44:45]
	v_fma_f64 v[48:49], v[112:113], s[4:5], -v[152:153]
	v_add_f64 v[48:49], v[48:49], v[46:47]
	v_fma_f64 v[46:47], v[126:127], s[44:45], v[154:155]
	v_add_f64 v[46:47], v[46:47], v[44:45]
	v_fma_f64 v[44:45], v[122:123], s[24:25], -v[156:157]
	v_add_f64 v[44:45], v[44:45], v[48:49]
	v_fma_f64 v[48:49], v[78:79], s[38:39], v[52:53]
	v_fma_f64 v[52:53], v[78:79], s[28:29], v[52:53]
	v_add_f64 v[48:49], v[48:49], v[68:69]
	v_fma_f64 v[68:69], v[84:85], s[10:11], v[54:55]
	v_add_f64 v[52:53], v[52:53], v[66:67]
	v_fma_f64 v[54:55], v[84:85], s[46:47], v[54:55]
	v_fma_f64 v[66:67], v[76:77], s[26:27], v[80:81]
	v_add_f64 v[48:49], v[68:69], v[48:49]
	v_mul_f64 v[68:69], v[120:121], s[30:31]
	v_add_f64 v[52:53], v[54:55], v[52:53]
	v_add_f64 v[58:59], v[66:67], v[58:59]
	v_fma_f64 v[86:87], v[92:93], s[34:35], v[68:69]
	v_fma_f64 v[54:55], v[92:93], s[40:41], v[68:69]
	v_add_f64 v[48:49], v[86:87], v[48:49]
	v_mul_f64 v[86:87], v[128:129], s[20:21]
	v_add_f64 v[52:53], v[54:55], v[52:53]
	v_fma_f64 v[106:107], v[104:105], s[56:57], v[86:87]
	v_fma_f64 v[54:55], v[104:105], s[22:23], v[86:87]
	v_add_f64 v[48:49], v[106:107], v[48:49]
	v_mul_f64 v[106:107], v[132:133], s[6:7]
	v_add_f64 v[52:53], v[54:55], v[52:53]
	v_mul_f64 v[132:133], v[140:141], s[16:17]
	v_fma_f64 v[120:121], v[110:111], s[8:9], v[106:107]
	v_fma_f64 v[54:55], v[110:111], s[52:53], v[106:107]
	v_add_f64 v[48:49], v[120:121], v[48:49]
	v_mul_f64 v[120:121], v[136:137], s[36:37]
	v_add_f64 v[52:53], v[54:55], v[52:53]
	v_mul_f64 v[136:137], v[138:139], s[48:49]
	v_fma_f64 v[128:129], v[114:115], s[42:43], v[120:121]
	v_fma_f64 v[54:55], v[114:115], s[50:51], v[120:121]
	;; [unrolled: 1-line block ×3, first 2 shown]
	v_add_f64 v[48:49], v[128:129], v[48:49]
	v_fma_f64 v[128:129], v[76:77], s[26:27], -v[80:81]
	v_add_f64 v[52:53], v[54:55], v[52:53]
	v_fma_f64 v[54:55], v[82:83], s[4:5], v[90:91]
	v_add_f64 v[50:51], v[128:129], v[50:51]
	v_fma_f64 v[128:129], v[82:83], s[4:5], -v[90:91]
	v_add_f64 v[54:55], v[54:55], v[58:59]
	v_fma_f64 v[58:59], v[88:89], s[30:31], v[116:117]
	;; [unrolled: 4-line block ×4, first 2 shown]
	v_add_f64 v[50:51], v[128:129], v[50:51]
	v_fma_f64 v[128:129], v[108:109], s[6:7], -v[124:125]
	v_add_f64 v[54:55], v[58:59], v[54:55]
	v_add_f64 v[50:51], v[128:129], v[50:51]
	v_mul_f64 v[128:129], v[130:131], s[42:43]
	v_fma_f64 v[58:59], v[112:113], s[36:37], v[128:129]
	v_fma_f64 v[130:131], v[112:113], s[36:37], -v[128:129]
	v_add_f64 v[58:59], v[58:59], v[54:55]
	v_fma_f64 v[54:55], v[126:127], s[18:19], v[132:133]
	v_add_f64 v[130:131], v[130:131], v[50:51]
	v_fma_f64 v[50:51], v[126:127], s[48:49], v[132:133]
	v_add_f64 v[54:55], v[54:55], v[52:53]
	v_add_f64 v[52:53], v[66:67], v[58:59]
	v_fma_f64 v[58:59], v[76:77], s[30:31], v[72:73]
	v_add_f64 v[50:51], v[50:51], v[48:49]
	v_fma_f64 v[48:49], v[122:123], s[16:17], -v[136:137]
	v_add_f64 v[58:59], v[58:59], v[60:61]
	v_fma_f64 v[60:61], v[82:83], s[6:7], v[74:75]
	v_add_f64 v[48:49], v[48:49], v[130:131]
	v_add_f64 v[58:59], v[60:61], v[58:59]
	v_fma_f64 v[60:61], v[88:89], s[16:17], v[134:135]
	v_add_f64 v[58:59], v[60:61], v[58:59]
	v_fma_f64 v[60:61], v[94:95], s[36:37], v[144:145]
	;; [unrolled: 2-line block ×4, first 2 shown]
	v_add_f64 v[60:61], v[60:61], v[58:59]
	v_add_f64 v[58:59], v[64:65], v[56:57]
	;; [unrolled: 1-line block ×3, first 2 shown]
	buffer_load_dword v60, off, s[60:63], 0 ; 4-byte Folded Reload
	v_mov_b32_e32 v61, 4
	s_waitcnt vmcnt(0)
	v_mul_lo_u16 v60, v60, 17
	v_lshlrev_b32_sdwa v60, v61, v60 dst_sel:DWORD dst_unused:UNUSED_PAD src0_sel:DWORD src1_sel:WORD_0
	ds_write_b128 v60, v[12:15]
	ds_write_b128 v60, v[28:31] offset:16
	ds_write_b128 v60, v[32:35] offset:32
	;; [unrolled: 1-line block ×16, first 2 shown]
.LBB0_7:
	s_or_b32 exec_lo, exec_lo, s33
	buffer_load_dword v9, off, s[60:63], 0  ; 4-byte Folded Reload
	s_load_dwordx4 s[4:7], s[0:1], 0x0
	s_waitcnt vmcnt(0) lgkmcnt(0)
	s_barrier
	buffer_gl0_inv
	s_mov_b32 s28, 0x42a4c3d2
	s_mov_b32 s30, 0x66966769
	;; [unrolled: 1-line block ×30, first 2 shown]
	v_and_b32_e32 v8, 0xff, v9
	v_mul_lo_u16 v8, 0xf1, v8
	v_lshrrev_b16 v201, 12, v8
	v_mul_lo_u16 v8, v201, 17
	v_sub_nc_u16 v8, v9, v8
	v_and_b32_e32 v200, 0xff, v8
	v_mul_u32_u24_e32 v8, 12, v200
	v_lshlrev_b32_e32 v52, 4, v8
	v_mov_b32_e32 v8, 0xdd
	s_clause 0x7
	global_load_dwordx4 v[26:29], v52, s[2:3]
	global_load_dwordx4 v[22:25], v52, s[2:3] offset:16
	global_load_dwordx4 v[243:246], v52, s[2:3] offset:32
	;; [unrolled: 1-line block ×7, first 2 shown]
	ds_read_b128 v[40:43], v255 offset:816
	ds_read_b128 v[44:47], v255 offset:1632
	ds_read_b128 v[48:51], v255 offset:2448
	ds_read_b128 v[60:63], v255
	ds_read_b128 v[53:56], v255 offset:3264
	ds_read_b128 v[64:67], v255 offset:4080
	v_mul_u32_u24_sdwa v8, v201, v8 dst_sel:DWORD dst_unused:UNUSED_PAD src0_sel:WORD_0 src1_sel:DWORD
	s_waitcnt vmcnt(7) lgkmcnt(5)
	v_mul_f64 v[57:58], v[42:43], v[28:29]
	v_mul_f64 v[68:69], v[40:41], v[28:29]
	s_waitcnt vmcnt(6) lgkmcnt(4)
	v_mul_f64 v[70:71], v[46:47], v[24:25]
	v_mul_f64 v[74:75], v[44:45], v[24:25]
	s_waitcnt vmcnt(5) lgkmcnt(3)
	v_mul_f64 v[76:77], v[50:51], v[245:246]
	s_waitcnt vmcnt(4) lgkmcnt(1)
	v_mul_f64 v[80:81], v[55:56], v[241:242]
	v_mul_f64 v[78:79], v[48:49], v[245:246]
	s_waitcnt vmcnt(3) lgkmcnt(0)
	v_mul_f64 v[84:85], v[66:67], v[20:21]
	v_fma_f64 v[108:109], v[40:41], v[26:27], -v[57:58]
	v_fma_f64 v[68:69], v[42:43], v[26:27], v[68:69]
	v_fma_f64 v[72:73], v[44:45], v[22:23], -v[70:71]
	v_fma_f64 v[74:75], v[46:47], v[22:23], v[74:75]
	ds_read_b128 v[40:43], v255 offset:4896
	ds_read_b128 v[44:47], v255 offset:5712
	v_mul_f64 v[57:58], v[53:54], v[241:242]
	v_fma_f64 v[76:77], v[48:49], v[243:244], -v[76:77]
	v_fma_f64 v[80:81], v[53:54], v[239:240], -v[80:81]
	v_mul_f64 v[70:71], v[64:65], v[20:21]
	v_fma_f64 v[78:79], v[50:51], v[243:244], v[78:79]
	v_fma_f64 v[84:85], v[64:65], v[18:19], -v[84:85]
	buffer_store_dword v18, off, s[60:63], 0 offset:76 ; 4-byte Folded Spill
	buffer_store_dword v19, off, s[60:63], 0 offset:80 ; 4-byte Folded Spill
	;; [unrolled: 1-line block ×4, first 2 shown]
	s_waitcnt vmcnt(2) lgkmcnt(1)
	v_mul_f64 v[48:49], v[42:43], v[16:17]
	s_waitcnt vmcnt(1) lgkmcnt(0)
	v_mul_f64 v[53:54], v[46:47], v[12:13]
	v_mul_f64 v[50:51], v[40:41], v[16:17]
	v_fma_f64 v[82:83], v[55:56], v[239:240], v[57:58]
	v_fma_f64 v[88:89], v[40:41], v[14:15], -v[48:49]
	buffer_store_dword v14, off, s[60:63], 0 offset:60 ; 4-byte Folded Spill
	buffer_store_dword v15, off, s[60:63], 0 offset:64 ; 4-byte Folded Spill
	;; [unrolled: 1-line block ×4, first 2 shown]
	v_mul_f64 v[40:41], v[44:45], v[12:13]
	v_fma_f64 v[92:93], v[44:45], v[10:11], -v[53:54]
	buffer_store_dword v10, off, s[60:63], 0 offset:44 ; 4-byte Folded Spill
	buffer_store_dword v11, off, s[60:63], 0 offset:48 ; 4-byte Folded Spill
	;; [unrolled: 1-line block ×4, first 2 shown]
	v_add_f64 v[212:213], v[88:89], v[92:93]
	v_fma_f64 v[86:87], v[66:67], v[18:19], v[70:71]
	v_fma_f64 v[90:91], v[42:43], v[14:15], v[50:51]
	;; [unrolled: 1-line block ×3, first 2 shown]
	ds_read_b128 v[40:43], v255 offset:6528
	ds_read_b128 v[48:51], v255 offset:7344
	s_clause 0x1
	global_load_dwordx4 v[10:13], v52, s[2:3] offset:128
	global_load_dwordx4 v[14:17], v52, s[2:3] offset:144
	s_waitcnt vmcnt(2) lgkmcnt(1)
	v_mul_f64 v[44:45], v[42:43], v[249:250]
	v_add_f64 v[218:219], v[90:91], v[94:95]
	v_fma_f64 v[104:105], v[40:41], v[247:248], -v[44:45]
	v_mul_f64 v[40:41], v[40:41], v[249:250]
	v_add_f64 v[206:207], v[84:85], -v[104:105]
	v_fma_f64 v[106:107], v[42:43], v[247:248], v[40:41]
	v_mul_f64 v[208:209], v[206:207], s[24:25]
	v_add_f64 v[202:203], v[86:87], -v[106:107]
	v_mul_f64 v[204:205], v[202:203], s[24:25]
	s_waitcnt vmcnt(1) lgkmcnt(0)
	v_mul_f64 v[53:54], v[50:51], v[12:13]
	v_fma_f64 v[112:113], v[48:49], v[10:11], -v[53:54]
	v_mul_f64 v[48:49], v[48:49], v[12:13]
	buffer_store_dword v10, off, s[60:63], 0 offset:92 ; 4-byte Folded Spill
	buffer_store_dword v11, off, s[60:63], 0 offset:96 ; 4-byte Folded Spill
	;; [unrolled: 1-line block ×4, first 2 shown]
	v_fma_f64 v[114:115], v[50:51], v[10:11], v[48:49]
	ds_read_b128 v[48:51], v255 offset:8160
	ds_read_b128 v[56:59], v255 offset:8976
	s_waitcnt vmcnt(0) lgkmcnt(1)
	v_mul_f64 v[53:54], v[50:51], v[16:17]
	v_fma_f64 v[116:117], v[48:49], v[14:15], -v[53:54]
	v_mul_f64 v[48:49], v[48:49], v[16:17]
	buffer_store_dword v14, off, s[60:63], 0 offset:108 ; 4-byte Folded Spill
	buffer_store_dword v15, off, s[60:63], 0 offset:112 ; 4-byte Folded Spill
	;; [unrolled: 1-line block ×4, first 2 shown]
	v_fma_f64 v[118:119], v[50:51], v[14:15], v[48:49]
	s_clause 0x1
	global_load_dwordx4 v[10:13], v52, s[2:3] offset:160
	global_load_dwordx4 v[14:17], v52, s[2:3] offset:176
	s_waitcnt vmcnt(1) lgkmcnt(0)
	v_mul_f64 v[64:65], v[58:59], v[12:13]
	v_fma_f64 v[120:121], v[56:57], v[10:11], -v[64:65]
	v_mul_f64 v[56:57], v[56:57], v[12:13]
	buffer_store_dword v10, off, s[60:63], 0 offset:124 ; 4-byte Folded Spill
	buffer_store_dword v11, off, s[60:63], 0 offset:128 ; 4-byte Folded Spill
	;; [unrolled: 1-line block ×4, first 2 shown]
	v_fma_f64 v[122:123], v[58:59], v[10:11], v[56:57]
	ds_read_b128 v[56:59], v255 offset:9792
	s_waitcnt vmcnt(0) lgkmcnt(0)
	v_mul_f64 v[64:65], v[58:59], v[16:17]
	v_fma_f64 v[124:125], v[56:57], v[14:15], -v[64:65]
	v_mul_f64 v[56:57], v[56:57], v[16:17]
	buffer_store_dword v14, off, s[60:63], 0 offset:140 ; 4-byte Folded Spill
	buffer_store_dword v15, off, s[60:63], 0 offset:144 ; 4-byte Folded Spill
	;; [unrolled: 1-line block ×4, first 2 shown]
	s_waitcnt_vscnt null, 0x0
	s_barrier
	buffer_gl0_inv
	v_add_f64 v[128:129], v[108:109], v[124:125]
	v_fma_f64 v[126:127], v[58:59], v[14:15], v[56:57]
	v_add_f64 v[56:57], v[68:69], -v[126:127]
	v_add_f64 v[130:131], v[68:69], v[126:127]
	v_mul_f64 v[58:59], v[56:57], s[22:23]
	v_mul_f64 v[64:65], v[56:57], s[28:29]
	;; [unrolled: 1-line block ×6, first 2 shown]
	v_fma_f64 v[132:133], v[128:129], s[16:17], -v[58:59]
	v_fma_f64 v[58:59], v[128:129], s[16:17], v[58:59]
	v_fma_f64 v[138:139], v[128:129], s[0:1], -v[66:67]
	v_fma_f64 v[140:141], v[128:129], s[0:1], v[66:67]
	v_fma_f64 v[134:135], v[128:129], s[8:9], -v[64:65]
	v_fma_f64 v[156:157], v[128:129], s[26:27], -v[56:57]
	v_fma_f64 v[162:163], v[128:129], s[26:27], v[56:57]
	v_add_f64 v[56:57], v[108:109], -v[124:125]
	v_fma_f64 v[136:137], v[128:129], s[8:9], v[64:65]
	v_fma_f64 v[142:143], v[128:129], s[10:11], -v[70:71]
	v_fma_f64 v[144:145], v[128:129], s[10:11], v[70:71]
	v_fma_f64 v[146:147], v[128:129], s[18:19], -v[110:111]
	v_fma_f64 v[148:149], v[128:129], s[18:19], v[110:111]
	v_add_f64 v[182:183], v[60:61], v[132:133]
	v_add_f64 v[178:179], v[60:61], v[138:139]
	;; [unrolled: 1-line block ×4, first 2 shown]
	v_mul_f64 v[66:67], v[56:57], s[28:29]
	v_mul_f64 v[64:65], v[56:57], s[22:23]
	;; [unrolled: 1-line block ×6, first 2 shown]
	v_add_f64 v[166:167], v[60:61], v[142:143]
	v_add_f64 v[142:143], v[60:61], v[156:157]
	;; [unrolled: 1-line block ×3, first 2 shown]
	s_mov_b32 s23, 0x3fddbe06
	v_fma_f64 v[154:155], v[130:131], s[8:9], -v[66:67]
	v_fma_f64 v[150:151], v[130:131], s[16:17], v[64:65]
	v_fma_f64 v[160:161], v[130:131], s[0:1], -v[70:71]
	v_fma_f64 v[64:65], v[130:131], s[16:17], -v[64:65]
	v_fma_f64 v[152:153], v[130:131], s[8:9], v[66:67]
	v_fma_f64 v[174:175], v[130:131], s[26:27], v[56:57]
	v_fma_f64 v[180:181], v[130:131], s[26:27], -v[56:57]
	v_fma_f64 v[158:159], v[130:131], s[0:1], v[70:71]
	v_fma_f64 v[164:165], v[130:131], s[10:11], v[110:111]
	v_fma_f64 v[168:169], v[130:131], s[10:11], -v[110:111]
	v_fma_f64 v[170:171], v[130:131], s[18:19], v[128:129]
	v_fma_f64 v[172:173], v[130:131], s[18:19], -v[128:129]
	v_add_f64 v[130:131], v[62:63], v[68:69]
	v_add_f64 v[128:129], v[60:61], v[108:109]
	;; [unrolled: 1-line block ×9, first 2 shown]
	v_add_f64 v[146:147], v[72:73], -v[120:121]
	v_add_f64 v[68:69], v[62:63], v[160:161]
	v_add_f64 v[160:161], v[60:61], v[144:145]
	v_add_f64 v[144:145], v[74:75], -v[122:123]
	v_add_f64 v[188:189], v[62:63], v[150:151]
	v_add_f64 v[108:109], v[62:63], v[64:65]
	;; [unrolled: 1-line block ×11, first 2 shown]
	v_add_f64 v[168:169], v[78:79], -v[118:119]
	v_add_f64 v[170:171], v[76:77], -v[116:117]
	;; [unrolled: 1-line block ×3, first 2 shown]
	v_add_f64 v[72:73], v[128:129], v[72:73]
	v_add_f64 v[74:75], v[130:131], v[74:75]
	v_mul_f64 v[186:187], v[146:147], s[28:29]
	v_mul_f64 v[184:185], v[144:145], s[28:29]
	;; [unrolled: 1-line block ×4, first 2 shown]
	v_add_f64 v[72:73], v[72:73], v[76:77]
	v_add_f64 v[74:75], v[74:75], v[78:79]
	v_fma_f64 v[62:63], v[138:139], s[8:9], v[186:187]
	v_fma_f64 v[60:61], v[136:137], s[8:9], -v[184:185]
	v_fma_f64 v[184:185], v[136:137], s[8:9], v[184:185]
	v_add_f64 v[72:73], v[72:73], v[80:81]
	v_add_f64 v[74:75], v[74:75], v[82:83]
	;; [unrolled: 1-line block ×3, first 2 shown]
	v_mul_f64 v[188:189], v[168:169], s[30:31]
	v_add_f64 v[60:61], v[60:61], v[182:183]
	v_add_f64 v[182:183], v[80:81], -v[112:113]
	v_add_f64 v[110:111], v[184:185], v[110:111]
	v_fma_f64 v[184:185], v[138:139], s[8:9], -v[186:187]
	v_add_f64 v[72:73], v[72:73], v[84:85]
	v_add_f64 v[74:75], v[74:75], v[86:87]
	v_fma_f64 v[162:163], v[156:157], s[0:1], -v[188:189]
	v_mul_f64 v[194:195], v[182:183], s[20:21]
	v_add_f64 v[108:109], v[184:185], v[108:109]
	v_fma_f64 v[184:185], v[156:157], s[0:1], v[188:189]
	v_add_f64 v[72:73], v[72:73], v[88:89]
	v_add_f64 v[74:75], v[74:75], v[90:91]
	;; [unrolled: 1-line block ×7, first 2 shown]
	v_fma_f64 v[172:173], v[162:163], s[0:1], v[190:191]
	v_fma_f64 v[184:185], v[162:163], s[0:1], -v[190:191]
	v_add_f64 v[72:73], v[72:73], v[104:105]
	v_add_f64 v[74:75], v[74:75], v[106:107]
	v_add_f64 v[62:63], v[172:173], v[62:63]
	v_add_f64 v[172:173], v[80:81], v[112:113]
	v_add_f64 v[108:109], v[184:185], v[108:109]
	v_add_f64 v[72:73], v[72:73], v[112:113]
	v_add_f64 v[74:75], v[74:75], v[114:115]
	v_fma_f64 v[174:175], v[172:173], s[10:11], -v[192:193]
	v_fma_f64 v[184:185], v[172:173], s[10:11], v[192:193]
	v_add_f64 v[72:73], v[72:73], v[116:117]
	v_add_f64 v[74:75], v[74:75], v[118:119]
	;; [unrolled: 1-line block ×7, first 2 shown]
	v_fma_f64 v[196:197], v[174:175], s[10:11], v[194:195]
	v_fma_f64 v[184:185], v[174:175], s[10:11], -v[194:195]
	v_add_f64 v[72:73], v[72:73], v[124:125]
	v_add_f64 v[74:75], v[74:75], v[126:127]
	v_add_f64 v[62:63], v[196:197], v[62:63]
	v_add_f64 v[196:197], v[84:85], v[104:105]
	v_add_f64 v[108:109], v[184:185], v[108:109]
	v_fma_f64 v[198:199], v[196:197], s[18:19], -v[204:205]
	v_fma_f64 v[184:185], v[196:197], s[18:19], v[204:205]
	v_add_f64 v[60:61], v[198:199], v[60:61]
	v_add_f64 v[198:199], v[86:87], v[106:107]
	;; [unrolled: 1-line block ×3, first 2 shown]
	v_fma_f64 v[210:211], v[198:199], s[18:19], v[208:209]
	v_fma_f64 v[184:185], v[198:199], s[18:19], -v[208:209]
	v_add_f64 v[62:63], v[210:211], v[62:63]
	v_add_f64 v[210:211], v[90:91], -v[94:95]
	v_add_f64 v[184:185], v[184:185], v[108:109]
	v_mul_f64 v[214:215], v[210:211], s[34:35]
	v_fma_f64 v[216:217], v[212:213], s[26:27], -v[214:215]
	v_fma_f64 v[108:109], v[212:213], s[26:27], v[214:215]
	v_add_f64 v[60:61], v[216:217], v[60:61]
	v_add_f64 v[216:217], v[88:89], -v[92:93]
	v_add_f64 v[108:109], v[108:109], v[110:111]
	v_mul_f64 v[220:221], v[216:217], s[34:35]
	v_fma_f64 v[186:187], v[218:219], s[26:27], -v[220:221]
	v_fma_f64 v[222:223], v[218:219], s[26:27], v[220:221]
	v_mul_f64 v[220:221], v[210:211], s[22:23]
	v_add_f64 v[110:111], v[186:187], v[184:185]
	v_mul_f64 v[184:185], v[144:145], s[20:21]
	v_add_f64 v[62:63], v[222:223], v[62:63]
	v_mul_f64 v[222:223], v[216:217], s[22:23]
	v_fma_f64 v[186:187], v[136:137], s[10:11], -v[184:185]
	v_fma_f64 v[184:185], v[136:137], s[10:11], v[184:185]
	v_add_f64 v[66:67], v[186:187], v[66:67]
	v_mul_f64 v[186:187], v[146:147], s[20:21]
	v_add_f64 v[58:59], v[184:185], v[58:59]
	v_fma_f64 v[188:189], v[138:139], s[10:11], v[186:187]
	v_fma_f64 v[184:185], v[138:139], s[10:11], -v[186:187]
	v_fma_f64 v[186:187], v[218:219], s[16:17], -v[222:223]
	v_add_f64 v[64:65], v[188:189], v[64:65]
	v_mul_f64 v[188:189], v[168:169], s[34:35]
	v_add_f64 v[56:57], v[184:185], v[56:57]
	v_fma_f64 v[190:191], v[156:157], s[26:27], -v[188:189]
	v_fma_f64 v[184:185], v[156:157], s[26:27], v[188:189]
	v_add_f64 v[66:67], v[190:191], v[66:67]
	v_mul_f64 v[190:191], v[170:171], s[34:35]
	v_add_f64 v[58:59], v[184:185], v[58:59]
	v_fma_f64 v[192:193], v[162:163], s[26:27], v[190:191]
	v_fma_f64 v[184:185], v[162:163], s[26:27], -v[190:191]
	v_add_f64 v[64:65], v[192:193], v[64:65]
	v_mul_f64 v[192:193], v[180:181], s[38:39]
	v_add_f64 v[56:57], v[184:185], v[56:57]
	v_fma_f64 v[194:195], v[172:173], s[18:19], -v[192:193]
	v_fma_f64 v[184:185], v[172:173], s[18:19], v[192:193]
	v_add_f64 v[66:67], v[194:195], v[66:67]
	v_mul_f64 v[194:195], v[182:183], s[38:39]
	v_add_f64 v[58:59], v[184:185], v[58:59]
	v_fma_f64 v[204:205], v[174:175], s[18:19], v[194:195]
	v_fma_f64 v[184:185], v[174:175], s[18:19], -v[194:195]
	v_add_f64 v[64:65], v[204:205], v[64:65]
	v_mul_f64 v[204:205], v[202:203], s[36:37]
	v_add_f64 v[56:57], v[184:185], v[56:57]
	v_fma_f64 v[208:209], v[196:197], s[0:1], -v[204:205]
	v_fma_f64 v[184:185], v[196:197], s[0:1], v[204:205]
	v_add_f64 v[66:67], v[208:209], v[66:67]
	v_mul_f64 v[208:209], v[206:207], s[36:37]
	v_add_f64 v[58:59], v[184:185], v[58:59]
	v_fma_f64 v[184:185], v[198:199], s[0:1], -v[208:209]
	v_fma_f64 v[214:215], v[198:199], s[0:1], v[208:209]
	v_add_f64 v[184:185], v[184:185], v[56:57]
	v_fma_f64 v[56:57], v[212:213], s[16:17], v[220:221]
	v_add_f64 v[214:215], v[214:215], v[64:65]
	v_fma_f64 v[64:65], v[212:213], s[16:17], -v[220:221]
	v_mul_f64 v[220:221], v[210:211], s[24:25]
	v_add_f64 v[56:57], v[56:57], v[58:59]
	v_add_f64 v[58:59], v[186:187], v[184:185]
	v_mul_f64 v[184:185], v[144:145], s[34:35]
	v_add_f64 v[64:65], v[64:65], v[66:67]
	v_fma_f64 v[66:67], v[218:219], s[16:17], v[222:223]
	v_mul_f64 v[222:223], v[216:217], s[24:25]
	v_fma_f64 v[186:187], v[136:137], s[26:27], -v[184:185]
	v_fma_f64 v[184:185], v[136:137], s[26:27], v[184:185]
	v_add_f64 v[66:67], v[66:67], v[214:215]
	v_add_f64 v[178:179], v[186:187], v[178:179]
	v_mul_f64 v[186:187], v[146:147], s[34:35]
	v_add_f64 v[70:71], v[184:185], v[70:71]
	s_mov_b32 s35, 0x3fcea1e5
	v_fma_f64 v[188:189], v[138:139], s[26:27], v[186:187]
	v_fma_f64 v[184:185], v[138:139], s[26:27], -v[186:187]
	v_fma_f64 v[186:187], v[218:219], s[18:19], -v[222:223]
	v_add_f64 v[176:177], v[188:189], v[176:177]
	v_mul_f64 v[188:189], v[168:169], s[40:41]
	v_add_f64 v[68:69], v[184:185], v[68:69]
	v_fma_f64 v[190:191], v[156:157], s[10:11], -v[188:189]
	v_fma_f64 v[184:185], v[156:157], s[10:11], v[188:189]
	v_mul_f64 v[188:189], v[144:145], s[38:39]
	v_add_f64 v[178:179], v[190:191], v[178:179]
	v_mul_f64 v[190:191], v[170:171], s[40:41]
	v_add_f64 v[70:71], v[184:185], v[70:71]
	v_fma_f64 v[192:193], v[162:163], s[10:11], v[190:191]
	v_fma_f64 v[184:185], v[162:163], s[10:11], -v[190:191]
	v_mul_f64 v[190:191], v[146:147], s[38:39]
	v_add_f64 v[176:177], v[192:193], v[176:177]
	v_mul_f64 v[192:193], v[180:181], s[22:23]
	v_add_f64 v[68:69], v[184:185], v[68:69]
	v_fma_f64 v[194:195], v[172:173], s[16:17], -v[192:193]
	v_fma_f64 v[184:185], v[172:173], s[16:17], v[192:193]
	v_mul_f64 v[192:193], v[168:169], s[22:23]
	v_add_f64 v[178:179], v[194:195], v[178:179]
	v_mul_f64 v[194:195], v[182:183], s[22:23]
	v_add_f64 v[70:71], v[184:185], v[70:71]
	v_fma_f64 v[204:205], v[174:175], s[16:17], v[194:195]
	v_fma_f64 v[184:185], v[174:175], s[16:17], -v[194:195]
	v_mul_f64 v[194:195], v[170:171], s[22:23]
	v_add_f64 v[176:177], v[204:205], v[176:177]
	v_mul_f64 v[204:205], v[202:203], s[28:29]
	v_add_f64 v[68:69], v[184:185], v[68:69]
	v_fma_f64 v[208:209], v[196:197], s[8:9], -v[204:205]
	v_fma_f64 v[184:185], v[196:197], s[8:9], v[204:205]
	v_mul_f64 v[204:205], v[180:181], s[30:31]
	v_add_f64 v[178:179], v[208:209], v[178:179]
	v_mul_f64 v[208:209], v[206:207], s[28:29]
	v_add_f64 v[70:71], v[184:185], v[70:71]
	v_fma_f64 v[184:185], v[198:199], s[8:9], -v[208:209]
	v_fma_f64 v[214:215], v[198:199], s[8:9], v[208:209]
	v_mul_f64 v[208:209], v[182:183], s[30:31]
	s_mov_b32 s31, 0x3fea55e2
	s_mov_b32 s30, s28
	v_add_f64 v[184:185], v[184:185], v[68:69]
	v_fma_f64 v[68:69], v[212:213], s[18:19], v[220:221]
	v_add_f64 v[214:215], v[214:215], v[176:177]
	v_fma_f64 v[176:177], v[212:213], s[18:19], -v[220:221]
	v_mul_f64 v[220:221], v[206:207], s[34:35]
	v_add_f64 v[68:69], v[68:69], v[70:71]
	v_add_f64 v[70:71], v[186:187], v[184:185]
	v_fma_f64 v[184:185], v[136:137], s[18:19], -v[188:189]
	v_add_f64 v[176:177], v[176:177], v[178:179]
	v_fma_f64 v[178:179], v[218:219], s[18:19], v[222:223]
	v_mul_f64 v[222:223], v[210:211], s[30:31]
	v_add_f64 v[166:167], v[184:185], v[166:167]
	v_fma_f64 v[184:185], v[138:139], s[18:19], v[190:191]
	v_add_f64 v[178:179], v[178:179], v[214:215]
	v_mul_f64 v[214:215], v[202:203], s[34:35]
	v_add_f64 v[164:165], v[184:185], v[164:165]
	v_fma_f64 v[184:185], v[156:157], s[16:17], -v[192:193]
	v_add_f64 v[166:167], v[184:185], v[166:167]
	v_fma_f64 v[184:185], v[162:163], s[16:17], v[194:195]
	v_add_f64 v[164:165], v[184:185], v[164:165]
	v_fma_f64 v[184:185], v[172:173], s[0:1], -v[204:205]
	v_add_f64 v[166:167], v[184:185], v[166:167]
	v_fma_f64 v[184:185], v[174:175], s[0:1], v[208:209]
	;; [unrolled: 4-line block ×3, first 2 shown]
	v_add_f64 v[164:165], v[184:185], v[164:165]
	v_fma_f64 v[184:185], v[212:213], s[8:9], -v[222:223]
	v_add_f64 v[184:185], v[184:185], v[166:167]
	v_mul_f64 v[166:167], v[216:217], s[30:31]
	v_fma_f64 v[186:187], v[218:219], s[8:9], v[166:167]
	v_fma_f64 v[166:167], v[218:219], s[8:9], -v[166:167]
	v_add_f64 v[186:187], v[186:187], v[164:165]
	v_fma_f64 v[164:165], v[136:137], s[18:19], v[188:189]
	v_add_f64 v[160:161], v[164:165], v[160:161]
	v_fma_f64 v[164:165], v[138:139], s[18:19], -v[190:191]
	v_add_f64 v[158:159], v[164:165], v[158:159]
	v_fma_f64 v[164:165], v[156:157], s[16:17], v[192:193]
	v_add_f64 v[160:161], v[164:165], v[160:161]
	;; [unrolled: 4-line block ×4, first 2 shown]
	v_fma_f64 v[164:165], v[198:199], s[26:27], -v[220:221]
	v_mul_f64 v[220:221], v[210:211], s[20:21]
	v_add_f64 v[164:165], v[164:165], v[158:159]
	v_fma_f64 v[158:159], v[212:213], s[8:9], v[222:223]
	v_mul_f64 v[222:223], v[216:217], s[20:21]
	v_add_f64 v[158:159], v[158:159], v[160:161]
	v_add_f64 v[160:161], v[166:167], v[164:165]
	v_mul_f64 v[164:165], v[144:145], s[36:37]
	v_mul_f64 v[144:145], v[144:145], s[22:23]
	v_fma_f64 v[166:167], v[136:137], s[0:1], -v[164:165]
	v_fma_f64 v[164:165], v[136:137], s[0:1], v[164:165]
	v_add_f64 v[154:155], v[166:167], v[154:155]
	v_mul_f64 v[166:167], v[146:147], s[36:37]
	v_add_f64 v[150:151], v[164:165], v[150:151]
	v_mul_f64 v[146:147], v[146:147], s[22:23]
	v_fma_f64 v[188:189], v[138:139], s[0:1], v[166:167]
	v_fma_f64 v[164:165], v[138:139], s[0:1], -v[166:167]
	v_fma_f64 v[166:167], v[218:219], s[10:11], -v[222:223]
	v_add_f64 v[152:153], v[188:189], v[152:153]
	v_mul_f64 v[188:189], v[168:169], s[28:29]
	v_add_f64 v[148:149], v[164:165], v[148:149]
	v_fma_f64 v[190:191], v[156:157], s[8:9], -v[188:189]
	v_fma_f64 v[164:165], v[156:157], s[8:9], v[188:189]
	v_add_f64 v[154:155], v[190:191], v[154:155]
	v_mul_f64 v[190:191], v[170:171], s[28:29]
	v_add_f64 v[150:151], v[164:165], v[150:151]
	v_fma_f64 v[192:193], v[162:163], s[8:9], v[190:191]
	v_fma_f64 v[164:165], v[162:163], s[8:9], -v[190:191]
	v_mul_f64 v[190:191], v[210:211], s[36:37]
	v_add_f64 v[152:153], v[192:193], v[152:153]
	v_mul_f64 v[192:193], v[180:181], s[34:35]
	v_add_f64 v[148:149], v[164:165], v[148:149]
	v_fma_f64 v[194:195], v[172:173], s[26:27], -v[192:193]
	v_fma_f64 v[164:165], v[172:173], s[26:27], v[192:193]
	v_mul_f64 v[192:193], v[216:217], s[36:37]
	v_add_f64 v[154:155], v[194:195], v[154:155]
	v_mul_f64 v[194:195], v[182:183], s[34:35]
	v_add_f64 v[150:151], v[164:165], v[150:151]
	v_fma_f64 v[204:205], v[174:175], s[26:27], v[194:195]
	v_fma_f64 v[164:165], v[174:175], s[26:27], -v[194:195]
	v_add_f64 v[152:153], v[204:205], v[152:153]
	v_mul_f64 v[204:205], v[202:203], s[22:23]
	v_add_f64 v[148:149], v[164:165], v[148:149]
	v_fma_f64 v[208:209], v[196:197], s[16:17], -v[204:205]
	v_fma_f64 v[164:165], v[196:197], s[16:17], v[204:205]
	v_add_f64 v[154:155], v[208:209], v[154:155]
	v_mul_f64 v[208:209], v[206:207], s[22:23]
	v_add_f64 v[150:151], v[164:165], v[150:151]
	v_fma_f64 v[164:165], v[198:199], s[16:17], -v[208:209]
	v_fma_f64 v[214:215], v[198:199], s[16:17], v[208:209]
	v_add_f64 v[164:165], v[164:165], v[148:149]
	v_fma_f64 v[148:149], v[212:213], s[10:11], v[220:221]
	v_add_f64 v[214:215], v[214:215], v[152:153]
	v_fma_f64 v[152:153], v[212:213], s[10:11], -v[220:221]
	v_add_f64 v[148:149], v[148:149], v[150:151]
	v_add_f64 v[150:151], v[166:167], v[164:165]
	v_fma_f64 v[164:165], v[136:137], s[16:17], -v[144:145]
	v_fma_f64 v[136:137], v[136:137], s[16:17], v[144:145]
	v_add_f64 v[152:153], v[152:153], v[154:155]
	v_fma_f64 v[154:155], v[218:219], s[10:11], v[222:223]
	v_add_f64 v[142:143], v[164:165], v[142:143]
	v_fma_f64 v[164:165], v[138:139], s[16:17], v[146:147]
	v_fma_f64 v[138:139], v[138:139], s[16:17], -v[146:147]
	v_add_f64 v[132:133], v[136:137], v[132:133]
	v_add_f64 v[154:155], v[154:155], v[214:215]
	;; [unrolled: 1-line block ×3, first 2 shown]
	v_mul_f64 v[164:165], v[168:169], s[24:25]
	v_add_f64 v[134:135], v[138:139], v[134:135]
	v_fma_f64 v[166:167], v[156:157], s[18:19], -v[164:165]
	v_fma_f64 v[144:145], v[156:157], s[18:19], v[164:165]
	v_add_lshl_u32 v164, v8, v200, 4
	v_add_f64 v[142:143], v[166:167], v[142:143]
	v_mul_f64 v[166:167], v[170:171], s[24:25]
	v_add_f64 v[132:133], v[144:145], v[132:133]
	v_fma_f64 v[168:169], v[162:163], s[18:19], v[166:167]
	v_fma_f64 v[146:147], v[162:163], s[18:19], -v[166:167]
	v_add_f64 v[140:141], v[168:169], v[140:141]
	v_mul_f64 v[168:169], v[180:181], s[30:31]
	v_add_f64 v[134:135], v[146:147], v[134:135]
	v_fma_f64 v[170:171], v[172:173], s[8:9], -v[168:169]
	v_fma_f64 v[136:137], v[172:173], s[8:9], v[168:169]
	v_add_f64 v[142:143], v[170:171], v[142:143]
	v_mul_f64 v[170:171], v[182:183], s[30:31]
	v_add_f64 v[132:133], v[136:137], v[132:133]
	v_fma_f64 v[136:137], v[212:213], s[0:1], v[190:191]
	v_fma_f64 v[180:181], v[174:175], s[8:9], v[170:171]
	v_fma_f64 v[138:139], v[174:175], s[8:9], -v[170:171]
	v_add_f64 v[140:141], v[180:181], v[140:141]
	v_mul_f64 v[180:181], v[202:203], s[20:21]
	v_add_f64 v[134:135], v[138:139], v[134:135]
	v_fma_f64 v[138:139], v[218:219], s[0:1], -v[192:193]
	v_fma_f64 v[182:183], v[196:197], s[10:11], -v[180:181]
	v_fma_f64 v[144:145], v[196:197], s[10:11], v[180:181]
	v_add_f64 v[142:143], v[182:183], v[142:143]
	v_mul_f64 v[182:183], v[206:207], s[20:21]
	v_add_f64 v[132:133], v[144:145], v[132:133]
	v_fma_f64 v[188:189], v[198:199], s[10:11], v[182:183]
	v_fma_f64 v[146:147], v[198:199], s[10:11], -v[182:183]
	v_add_f64 v[132:133], v[136:137], v[132:133]
	v_add_f64 v[188:189], v[188:189], v[140:141]
	v_fma_f64 v[140:141], v[212:213], s[0:1], -v[190:191]
	v_add_f64 v[134:135], v[146:147], v[134:135]
	v_add_f64 v[140:141], v[140:141], v[142:143]
	v_fma_f64 v[142:143], v[218:219], s[0:1], v[192:193]
	v_add_f64 v[134:135], v[138:139], v[134:135]
	v_cmp_gt_u16_e64 s0, 17, v9
	v_add_f64 v[142:143], v[142:143], v[188:189]
	ds_write_b128 v164, v[60:63] offset:272
	ds_write_b128 v164, v[64:67] offset:544
	;; [unrolled: 1-line block ×12, first 2 shown]
	ds_write_b128 v164, v[72:75]
	s_waitcnt lgkmcnt(0)
	s_barrier
	buffer_gl0_inv
	ds_read_b128 v[120:123], v255
	ds_read_b128 v[104:107], v255 offset:816
	ds_read_b128 v[148:151], v255 offset:3536
	;; [unrolled: 1-line block ×11, first 2 shown]
	s_and_saveexec_b32 s1, s0
	s_cbranch_execz .LBB0_9
; %bb.8:
	ds_read_b128 v[108:111], v255 offset:3264
	ds_read_b128 v[100:103], v255 offset:6800
	;; [unrolled: 1-line block ×3, first 2 shown]
.LBB0_9:
	s_or_b32 exec_lo, exec_lo, s1
	buffer_load_dword v15, off, s[60:63], 0 ; 4-byte Folded Reload
	s_mov_b32 s9, 0xbfebb67a
	s_waitcnt vmcnt(0)
	v_lshlrev_b32_e32 v8, 5, v15
	v_add_co_u32 v9, s1, s2, v8
	v_add_co_ci_u32_e64 v10, null, s3, 0, s1
	v_add_co_u32 v11, s1, 0xcc, v15
	v_add_co_ci_u32_e64 v12, null, 0, 0, s1
	v_add_co_u32 v56, s1, 0xcc0, v9
	v_add_nc_u32_e32 v13, 0x660, v8
	v_add_co_ci_u32_e64 v57, s1, 0, v10, s1
	v_add_co_u32 v58, s1, 0x800, v9
	v_add_co_ci_u32_e64 v59, s1, 0, v10, s1
	v_add_co_u32 v9, s1, s2, v13
	v_add_co_ci_u32_e64 v10, null, s3, 0, s1
	v_add_nc_u32_e32 v13, 0xcc0, v8
	v_add_co_u32 v60, s1, 0xcc0, v9
	v_add_co_ci_u32_e64 v61, s1, 0, v10, s1
	v_add_co_u32 v13, s1, s2, v13
	v_add_co_ci_u32_e64 v14, null, s3, 0, s1
	v_add_co_u32 v62, s1, 0x800, v9
	v_add_co_ci_u32_e64 v63, s1, 0, v10, s1
	v_add_co_u32 v84, s1, 0xcc0, v13
	v_add_co_ci_u32_e64 v85, s1, 0, v14, s1
	;; [unrolled: 2-line block ×3, first 2 shown]
	v_add_co_u32 v9, s1, 0xffffffef, v15
	v_add_nc_u32_e32 v8, 0x1320, v8
	v_add_co_ci_u32_e64 v10, null, 0, -1, s1
	s_clause 0x5
	global_load_dwordx4 v[42:45], v[58:59], off offset:1216
	global_load_dwordx4 v[38:41], v[56:57], off offset:16
	;; [unrolled: 1-line block ×6, first 2 shown]
	v_cndmask_b32_e64 v56, v9, v11, s0
	v_add_co_u32 v8, s1, s2, v8
	v_cndmask_b32_e64 v57, v10, v12, s0
	v_add_co_ci_u32_e64 v13, null, s3, 0, s1
	v_add_co_u32 v58, s1, 0xcc0, v8
	v_lshlrev_b64 v[56:57], 5, v[56:57]
	v_add_co_ci_u32_e64 v59, s1, 0, v13, s1
	v_add_co_u32 v60, s1, 0x800, v8
	v_add_co_ci_u32_e64 v61, s1, 0, v13, s1
	v_add_co_u32 v8, s1, s2, v56
	v_add_co_ci_u32_e64 v9, s1, s3, v57, s1
	global_load_dwordx4 v[88:91], v[60:61], off offset:1216
	v_add_co_u32 v56, s1, 0x800, v8
	v_add_co_ci_u32_e64 v57, s1, 0, v9, s1
	v_add_co_u32 v60, s1, 0xcc0, v8
	v_add_co_ci_u32_e64 v61, s1, 0, v9, s1
	s_clause 0x2
	global_load_dwordx4 v[92:95], v[58:59], off offset:16
	global_load_dwordx4 v[8:11], v[56:57], off offset:1216
	;; [unrolled: 1-line block ×3, first 2 shown]
	s_mov_b32 s2, 0xe8584caa
	s_mov_b32 s3, 0x3febb67a
	;; [unrolled: 1-line block ×3, first 2 shown]
	s_waitcnt vmcnt(9) lgkmcnt(9)
	v_mul_f64 v[156:157], v[150:151], v[44:45]
	s_waitcnt vmcnt(8) lgkmcnt(7)
	v_mul_f64 v[160:161], v[154:155], v[40:41]
	s_waitcnt vmcnt(7)
	v_mul_f64 v[165:166], v[134:135], v[18:19]
	s_waitcnt vmcnt(6) lgkmcnt(6)
	v_mul_f64 v[169:170], v[138:139], v[32:33]
	s_waitcnt vmcnt(5) lgkmcnt(3)
	;; [unrolled: 2-line block ×3, first 2 shown]
	v_mul_f64 v[177:178], v[146:147], v[48:49]
	v_mul_f64 v[158:159], v[148:149], v[44:45]
	;; [unrolled: 1-line block ×7, first 2 shown]
	v_fma_f64 v[148:149], v[148:149], v[42:43], -v[156:157]
	buffer_store_dword v42, off, s[60:63], 0 offset:220 ; 4-byte Folded Spill
	buffer_store_dword v43, off, s[60:63], 0 offset:224 ; 4-byte Folded Spill
	buffer_store_dword v44, off, s[60:63], 0 offset:228 ; 4-byte Folded Spill
	buffer_store_dword v45, off, s[60:63], 0 offset:232 ; 4-byte Folded Spill
	v_fma_f64 v[152:153], v[152:153], v[38:39], -v[160:161]
	buffer_store_dword v38, off, s[60:63], 0 offset:204 ; 4-byte Folded Spill
	buffer_store_dword v39, off, s[60:63], 0 offset:208 ; 4-byte Folded Spill
	buffer_store_dword v40, off, s[60:63], 0 offset:212 ; 4-byte Folded Spill
	buffer_store_dword v41, off, s[60:63], 0 offset:216 ; 4-byte Folded Spill
	;; [unrolled: 5-line block ×6, first 2 shown]
	s_waitcnt vmcnt(1)
	v_mul_f64 v[189:190], v[102:103], v[10:11]
	s_waitcnt vmcnt(0) lgkmcnt(0)
	v_mul_f64 v[193:194], v[98:99], v[14:15]
	v_mul_f64 v[191:192], v[100:101], v[10:11]
	;; [unrolled: 1-line block ×7, first 2 shown]
	v_add_f64 v[156:157], v[120:121], v[148:149]
	v_add_f64 v[165:166], v[148:149], -v[152:153]
	v_add_f64 v[173:174], v[116:117], v[140:141]
	v_fma_f64 v[100:101], v[100:101], v[8:9], -v[189:190]
	buffer_store_dword v8, off, s[60:63], 0 offset:252 ; 4-byte Folded Spill
	buffer_store_dword v9, off, s[60:63], 0 offset:256 ; 4-byte Folded Spill
	;; [unrolled: 1-line block ×4, first 2 shown]
	v_fma_f64 v[96:97], v[96:97], v[12:13], -v[193:194]
	buffer_store_dword v12, off, s[60:63], 0 offset:268 ; 4-byte Folded Spill
	buffer_store_dword v13, off, s[60:63], 0 offset:272 ; 4-byte Folded Spill
	;; [unrolled: 1-line block ×4, first 2 shown]
	v_fma_f64 v[124:125], v[124:125], v[88:89], -v[181:182]
	v_fma_f64 v[126:127], v[126:127], v[88:89], v[183:184]
	v_fma_f64 v[128:129], v[128:129], v[92:93], -v[185:186]
	v_fma_f64 v[130:131], v[130:131], v[92:93], v[187:188]
	v_add_f64 v[181:182], v[140:141], -v[144:145]
	v_add_f64 v[189:190], v[100:101], v[96:97]
	v_add_f64 v[183:184], v[112:113], v[124:125]
	v_add_f64 v[193:194], v[124:125], -v[128:129]
	v_add_f64 v[185:186], v[126:127], v[130:131]
	v_add_f64 v[187:188], v[126:127], -v[130:131]
	v_add_f64 v[126:127], v[114:115], v[126:127]
	v_add_f64 v[126:127], v[126:127], v[130:131]
	v_fma_f64 v[150:151], v[150:151], v[42:43], v[158:159]
	v_add_f64 v[158:159], v[148:149], v[152:153]
	v_fma_f64 v[154:155], v[154:155], v[38:39], v[162:163]
	;; [unrolled: 2-line block ×4, first 2 shown]
	v_add_f64 v[132:133], v[132:133], -v[136:137]
	v_fma_f64 v[142:143], v[142:143], v[34:35], v[175:176]
	v_add_f64 v[175:176], v[140:141], v[144:145]
	v_fma_f64 v[146:147], v[146:147], v[46:47], v[179:180]
	v_add_f64 v[140:141], v[124:125], v[128:129]
	v_add_f64 v[124:125], v[183:184], v[128:129]
	;; [unrolled: 1-line block ×3, first 2 shown]
	v_fma_f64 v[120:121], v[158:159], -0.5, v[120:121]
	v_add_f64 v[162:163], v[150:151], -v[154:155]
	v_add_f64 v[150:151], v[150:151], v[154:155]
	v_add_f64 v[171:172], v[106:107], v[134:135]
	v_fma_f64 v[167:168], v[167:168], -0.5, v[104:105]
	v_add_f64 v[169:170], v[134:135], -v[138:139]
	v_add_f64 v[134:135], v[134:135], v[138:139]
	v_add_f64 v[179:180], v[118:119], v[142:143]
	v_fma_f64 v[116:117], v[175:176], -0.5, v[116:117]
	v_add_f64 v[177:178], v[142:143], -v[146:147]
	v_add_f64 v[142:143], v[142:143], v[146:147]
	v_fma_f64 v[102:103], v[102:103], v[8:9], v[191:192]
	v_add_f64 v[148:149], v[148:149], v[136:137]
	v_fma_f64 v[98:99], v[98:99], v[12:13], v[195:196]
	v_add_f64 v[195:196], v[108:109], v[100:101]
	v_add_f64 v[100:101], v[100:101], -v[96:97]
	v_add_f64 v[136:137], v[173:174], v[144:145]
	v_fma_f64 v[173:174], v[185:186], -0.5, v[114:115]
	v_fma_f64 v[108:109], v[189:190], -0.5, v[108:109]
	v_add_f64 v[104:105], v[156:157], v[152:153]
	v_fma_f64 v[156:157], v[162:163], s[8:9], v[120:121]
	v_fma_f64 v[122:123], v[150:151], -0.5, v[122:123]
	v_add_f64 v[150:151], v[171:172], v[138:139]
	v_fma_f64 v[171:172], v[140:141], -0.5, v[112:113]
	v_fma_f64 v[152:153], v[169:170], s[2:3], v[167:168]
	v_fma_f64 v[134:135], v[134:135], -0.5, v[106:107]
	v_add_f64 v[106:107], v[160:161], v[154:155]
	v_add_f64 v[138:139], v[179:180], v[146:147]
	v_fma_f64 v[160:161], v[162:163], s[2:3], v[120:121]
	v_fma_f64 v[118:119], v[142:143], -0.5, v[118:119]
	v_add_f64 v[197:198], v[110:111], v[102:103]
	v_fma_f64 v[144:145], v[169:170], s[8:9], v[167:168]
	v_add_f64 v[191:192], v[102:103], v[98:99]
	v_add_f64 v[102:103], v[102:103], -v[98:99]
	v_add_f64 v[112:113], v[195:196], v[96:97]
	v_fma_f64 v[140:141], v[177:178], s[2:3], v[116:117]
	v_fma_f64 v[130:131], v[193:194], s[8:9], v[173:174]
	;; [unrolled: 1-line block ×11, first 2 shown]
	v_add_f64 v[114:115], v[197:198], v[98:99]
	v_fma_f64 v[134:135], v[181:182], s[2:3], v[118:119]
	v_fma_f64 v[110:111], v[191:192], -0.5, v[110:111]
	v_fma_f64 v[116:117], v[102:103], s[2:3], v[108:109]
	v_fma_f64 v[108:109], v[102:103], s[8:9], v[108:109]
	ds_write_b128 v255, v[104:107]
	ds_write_b128 v255, v[148:151] offset:816
	ds_write_b128 v255, v[160:163] offset:3536
	;; [unrolled: 1-line block ×11, first 2 shown]
	v_fma_f64 v[118:119], v[100:101], s[8:9], v[110:111]
	v_fma_f64 v[110:111], v[100:101], s[2:3], v[110:111]
	s_and_saveexec_b32 s1, s0
	s_cbranch_execz .LBB0_11
; %bb.10:
	ds_write_b128 v255, v[112:115] offset:3264
	ds_write_b128 v255, v[116:119] offset:6800
	;; [unrolled: 1-line block ×3, first 2 shown]
.LBB0_11:
	s_or_b32 exec_lo, exec_lo, s1
	s_waitcnt lgkmcnt(0)
	s_waitcnt_vscnt null, 0x0
	s_barrier
	buffer_gl0_inv
	s_and_saveexec_b32 s2, vcc_lo
	s_cbranch_execz .LBB0_13
; %bb.12:
	v_add_co_u32 v100, s1, s12, v255
	v_add_co_ci_u32_e64 v101, null, s13, 0, s1
	v_add_co_u32 v96, s1, 0x2800, v100
	v_add_co_ci_u32_e64 v97, s1, 0, v101, s1
	v_add_co_u32 v102, s1, 0x2970, v100
	v_add_co_ci_u32_e64 v103, s1, 0, v101, s1
	s_clause 0x3
	global_load_dwordx4 v[96:99], v[96:97], off offset:368
	global_load_dwordx4 v[165:168], v[102:103], off offset:624
	;; [unrolled: 1-line block ×4, first 2 shown]
	v_add_co_u32 v102, s1, 0x3000, v100
	v_add_co_ci_u32_e64 v103, s1, 0, v101, s1
	s_clause 0x1
	global_load_dwordx4 v[177:180], v[102:103], off offset:816
	global_load_dwordx4 v[181:184], v[102:103], off offset:1440
	v_add_co_u32 v102, s1, 0x3800, v100
	v_add_co_ci_u32_e64 v103, s1, 0, v101, s1
	s_clause 0x3
	global_load_dwordx4 v[185:188], v[102:103], off offset:16
	global_load_dwordx4 v[189:192], v[102:103], off offset:640
	;; [unrolled: 1-line block ×4, first 2 shown]
	v_add_co_u32 v102, s1, 0x4000, v100
	v_add_co_ci_u32_e64 v103, s1, 0, v101, s1
	s_clause 0x2
	global_load_dwordx4 v[201:204], v[102:103], off offset:464
	global_load_dwordx4 v[205:208], v[102:103], off offset:1088
	;; [unrolled: 1-line block ×3, first 2 shown]
	v_add_co_u32 v102, s1, 0x4800, v100
	v_add_co_ci_u32_e64 v103, s1, 0, v101, s1
	ds_read_b128 v[213:216], v255
	ds_read_b128 v[221:224], v255 offset:624
	v_add_co_u32 v100, s1, 0x5000, v100
	global_load_dwordx4 v[217:220], v[102:103], off offset:288
	v_add_co_ci_u32_e64 v101, s1, 0, v101, s1
	s_waitcnt vmcnt(13) lgkmcnt(1)
	v_mul_f64 v[225:226], v[215:216], v[98:99]
	v_mul_f64 v[98:99], v[213:214], v[98:99]
	v_fma_f64 v[213:214], v[213:214], v[96:97], -v[225:226]
	s_waitcnt vmcnt(12) lgkmcnt(0)
	v_mul_f64 v[225:226], v[223:224], v[167:168]
	v_mul_f64 v[167:168], v[221:222], v[167:168]
	v_fma_f64 v[215:216], v[215:216], v[96:97], v[98:99]
	ds_read_b128 v[96:99], v255 offset:1248
	v_fma_f64 v[221:222], v[221:222], v[165:166], -v[225:226]
	v_fma_f64 v[223:224], v[223:224], v[165:166], v[167:168]
	ds_read_b128 v[165:168], v255 offset:1872
	s_waitcnt vmcnt(11) lgkmcnt(1)
	v_mul_f64 v[225:226], v[98:99], v[171:172]
	v_mul_f64 v[171:172], v[96:97], v[171:172]
	v_fma_f64 v[96:97], v[96:97], v[169:170], -v[225:226]
	s_waitcnt vmcnt(10) lgkmcnt(0)
	v_mul_f64 v[225:226], v[167:168], v[175:176]
	v_mul_f64 v[175:176], v[165:166], v[175:176]
	v_fma_f64 v[98:99], v[98:99], v[169:170], v[171:172]
	ds_read_b128 v[169:172], v255 offset:2496
	v_fma_f64 v[165:166], v[165:166], v[173:174], -v[225:226]
	v_fma_f64 v[167:168], v[167:168], v[173:174], v[175:176]
	ds_read_b128 v[173:176], v255 offset:3120
	;; [unrolled: 12-line block ×6, first 2 shown]
	s_waitcnt vmcnt(1) lgkmcnt(1)
	v_mul_f64 v[225:226], v[203:204], v[211:212]
	v_mul_f64 v[211:212], v[201:202], v[211:212]
	v_fma_f64 v[201:202], v[201:202], v[209:210], -v[225:226]
	v_fma_f64 v[203:204], v[203:204], v[209:210], v[211:212]
	global_load_dwordx4 v[209:212], v[102:103], off offset:912
	s_waitcnt vmcnt(1) lgkmcnt(0)
	v_mul_f64 v[225:226], v[207:208], v[219:220]
	v_mul_f64 v[219:220], v[205:206], v[219:220]
	v_fma_f64 v[205:206], v[205:206], v[217:218], -v[225:226]
	v_fma_f64 v[207:208], v[207:208], v[217:218], v[219:220]
	global_load_dwordx4 v[217:220], v[102:103], off offset:1536
	ds_read_b128 v[225:228], v255 offset:8736
	ds_read_b128 v[229:232], v255 offset:9360
	s_waitcnt vmcnt(1) lgkmcnt(1)
	v_mul_f64 v[102:103], v[227:228], v[211:212]
	v_mul_f64 v[211:212], v[225:226], v[211:212]
	v_fma_f64 v[225:226], v[225:226], v[209:210], -v[102:103]
	v_fma_f64 v[227:228], v[227:228], v[209:210], v[211:212]
	s_waitcnt vmcnt(0) lgkmcnt(0)
	v_mul_f64 v[102:103], v[231:232], v[219:220]
	v_mul_f64 v[211:212], v[229:230], v[219:220]
	v_fma_f64 v[209:210], v[229:230], v[217:218], -v[102:103]
	global_load_dwordx4 v[100:103], v[100:101], off offset:112
	v_fma_f64 v[211:212], v[231:232], v[217:218], v[211:212]
	ds_read_b128 v[217:220], v255 offset:9984
	s_waitcnt vmcnt(0) lgkmcnt(0)
	v_mul_f64 v[229:230], v[219:220], v[102:103]
	v_mul_f64 v[102:103], v[217:218], v[102:103]
	v_fma_f64 v[217:218], v[217:218], v[100:101], -v[229:230]
	v_fma_f64 v[219:220], v[219:220], v[100:101], v[102:103]
	ds_write_b128 v255, v[213:216]
	ds_write_b128 v255, v[221:224] offset:624
	ds_write_b128 v255, v[96:99] offset:1248
	;; [unrolled: 1-line block ×16, first 2 shown]
.LBB0_13:
	s_or_b32 exec_lo, exec_lo, s2
	s_waitcnt lgkmcnt(0)
	s_barrier
	buffer_gl0_inv
	s_and_saveexec_b32 s1, vcc_lo
	s_cbranch_execz .LBB0_15
; %bb.14:
	ds_read_b128 v[104:107], v255
	ds_read_b128 v[160:163], v255 offset:624
	ds_read_b128 v[156:159], v255 offset:1248
	;; [unrolled: 1-line block ×16, first 2 shown]
.LBB0_15:
	s_or_b32 exec_lo, exec_lo, s1
	s_waitcnt lgkmcnt(0)
	v_add_f64 v[237:238], v[162:163], -v[2:3]
	s_mov_b32 s16, 0x7c9e640b
	s_mov_b32 s17, 0xbfeca52d
	v_add_f64 v[235:236], v[160:161], v[0:1]
	v_add_f64 v[181:182], v[158:159], -v[6:7]
	s_mov_b32 s2, 0x2b2883cd
	s_mov_b32 s18, 0x6c9a05f6
	s_mov_b32 s3, 0x3fdc86fa
	s_mov_b32 s19, 0xbfe9895b
	v_add_f64 v[165:166], v[156:157], v[4:5]
	v_add_f64 v[253:254], v[162:163], v[2:3]
	s_mov_b32 s8, 0x6ed5f1bb
	s_mov_b32 s9, 0xbfe348c8
	v_add_f64 v[203:204], v[160:161], -v[0:1]
	v_add_f64 v[167:168], v[158:159], v[6:7]
	v_add_f64 v[183:184], v[156:157], -v[4:5]
	v_add_f64 v[60:61], v[150:151], -v[110:111]
	s_mov_b32 s22, 0xacd6c6b4
	s_mov_b32 s23, 0xbfc7851a
	s_mov_b32 s37, 0x3fc7851a
	s_mov_b32 s36, s22
	v_add_f64 v[169:170], v[148:149], v[108:109]
	v_mul_f64 v[12:13], v[237:238], s[16:17]
	v_add_f64 v[171:172], v[150:151], v[110:111]
	s_mov_b32 s10, 0x7faef3
	s_mov_b32 s11, 0xbfef7484
	v_mul_f64 v[32:33], v[181:182], s[18:19]
	v_add_f64 v[195:196], v[148:149], -v[108:109]
	v_add_f64 v[193:194], v[154:155], -v[118:119]
	s_mov_b32 s34, 0x923c349f
	s_mov_b32 s35, 0x3feec746
	v_add_f64 v[173:174], v[152:153], v[116:117]
	v_mul_f64 v[209:210], v[253:254], s[2:3]
	v_add_f64 v[177:178], v[154:155], v[118:119]
	s_mov_b32 s20, 0xc61f0d01
	s_mov_b32 s21, 0xbfd183b1
	v_mul_f64 v[36:37], v[167:168], s[8:9]
	v_add_f64 v[207:208], v[152:153], -v[116:117]
	v_mul_f64 v[34:35], v[60:61], s[36:37]
	v_add_f64 v[64:65], v[146:147], -v[114:115]
	s_mov_b32 s38, 0x2a9d6da3
	s_mov_b32 s39, 0x3fe58eea
	v_add_f64 v[179:180], v[144:145], v[112:113]
	v_add_f64 v[185:186], v[146:147], v[114:115]
	v_fma_f64 v[96:97], v[235:236], s[2:3], -v[12:13]
	v_mul_f64 v[40:41], v[171:172], s[10:11]
	s_mov_b32 s24, 0x75d4884
	s_mov_b32 s25, 0x3fe7a5f6
	v_fma_f64 v[98:99], v[165:166], s[8:9], -v[32:33]
	v_add_f64 v[215:216], v[144:145], -v[112:113]
	v_mul_f64 v[38:39], v[193:194], s[34:35]
	v_add_f64 v[205:206], v[138:139], -v[122:123]
	s_mov_b32 s44, 0x5d8e7cdc
	s_mov_b32 s45, 0x3fd71e95
	;; [unrolled: 1-line block ×3, first 2 shown]
	v_mul_f64 v[44:45], v[177:178], s[20:21]
	s_mov_b32 s40, s44
	v_add_f64 v[187:188], v[136:137], v[120:121]
	v_fma_f64 v[100:101], v[183:184], s[18:19], v[36:37]
	v_add_f64 v[189:190], v[138:139], v[122:123]
	s_mov_b32 s26, 0x370991
	v_mul_f64 v[42:43], v[64:65], s[38:39]
	s_mov_b32 s27, 0x3fedd6d0
	v_add_f64 v[219:220], v[136:137], -v[120:121]
	v_add_f64 v[213:214], v[142:143], -v[130:131]
	v_mul_f64 v[48:49], v[185:186], s[24:25]
	v_add_f64 v[96:97], v[104:105], v[96:97]
	s_mov_b32 s46, 0xeb564b22
	s_mov_b32 s47, 0xbfefdd0d
	v_add_f64 v[191:192], v[140:141], v[128:129]
	v_add_f64 v[197:198], v[142:143], v[130:131]
	s_mov_b32 s28, 0x3259b75e
	s_mov_b32 s29, 0x3fb79ee6
	v_mul_f64 v[46:47], v[205:206], s[40:41]
	v_add_f64 v[225:226], v[140:141], -v[128:129]
	v_add_f64 v[217:218], v[134:135], -v[126:127]
	s_mov_b32 s42, 0x4363dd80
	s_mov_b32 s43, 0xbfe0d888
	v_add_f64 v[199:200], v[132:133], v[124:125]
	v_add_f64 v[201:202], v[134:135], v[126:127]
	s_mov_b32 s30, 0x910ea3b9
	v_mul_f64 v[14:15], v[189:190], s[26:27]
	s_mov_b32 s31, 0xbfeb34fa
	v_add_f64 v[229:230], v[132:133], -v[124:125]
	v_mul_f64 v[211:212], v[237:238], s[46:47]
	v_mul_f64 v[18:19], v[181:182], s[22:23]
	;; [unrolled: 1-line block ×4, first 2 shown]
	v_add_f64 v[96:97], v[98:99], v[96:97]
	v_fma_f64 v[98:99], v[203:204], s[16:17], v[209:210]
	v_mul_f64 v[74:75], v[167:168], s[10:11]
	v_mul_f64 v[30:31], v[60:61], s[34:35]
	;; [unrolled: 1-line block ×10, first 2 shown]
	s_mov_b32 s49, 0x3fe9895b
	v_mul_f64 v[70:71], v[201:202], s[30:31]
	s_mov_b32 s48, s18
	v_mul_f64 v[82:83], v[189:190], s[30:31]
	v_mul_f64 v[80:81], v[197:198], s[8:9]
	;; [unrolled: 1-line block ×4, first 2 shown]
	v_fma_f64 v[102:103], v[165:166], s[10:11], -v[18:19]
	v_add_f64 v[98:99], v[106:107], v[98:99]
	v_fma_f64 v[227:228], v[183:184], s[22:23], v[74:75]
	v_fma_f64 v[251:252], v[199:200], s[24:25], -v[68:69]
	v_add_f64 v[98:99], v[100:101], v[98:99]
	v_fma_f64 v[100:101], v[169:170], s[10:11], -v[34:35]
	v_add_f64 v[96:97], v[100:101], v[96:97]
	v_fma_f64 v[100:101], v[195:196], s[36:37], v[40:41]
	v_add_f64 v[98:99], v[100:101], v[98:99]
	v_fma_f64 v[100:101], v[173:174], s[20:21], -v[38:39]
	v_add_f64 v[96:97], v[100:101], v[96:97]
	v_fma_f64 v[100:101], v[207:208], s[34:35], v[44:45]
	;; [unrolled: 4-line block ×6, first 2 shown]
	v_mul_f64 v[96:97], v[213:214], s[48:49]
	v_add_f64 v[10:11], v[100:101], v[98:99]
	v_fma_f64 v[100:101], v[235:236], s[28:29], -v[211:212]
	v_fma_f64 v[233:234], v[191:192], s[8:9], -v[96:97]
	buffer_store_dword v8, off, s[60:63], 0 offset:12 ; 4-byte Folded Spill
	buffer_store_dword v9, off, s[60:63], 0 offset:16 ; 4-byte Folded Spill
	;; [unrolled: 1-line block ×4, first 2 shown]
	v_add_f64 v[100:101], v[104:105], v[100:101]
	v_add_f64 v[100:101], v[102:103], v[100:101]
	v_fma_f64 v[102:103], v[203:204], s[46:47], v[54:55]
	v_add_f64 v[102:103], v[106:107], v[102:103]
	v_add_f64 v[102:103], v[227:228], v[102:103]
	v_fma_f64 v[227:228], v[169:170], s[20:21], -v[30:31]
	v_add_f64 v[100:101], v[227:228], v[100:101]
	v_fma_f64 v[227:228], v[195:196], s[34:35], v[72:73]
	v_add_f64 v[102:103], v[227:228], v[102:103]
	v_fma_f64 v[227:228], v[173:174], s[26:27], -v[175:176]
	v_add_f64 v[100:101], v[227:228], v[100:101]
	v_fma_f64 v[227:228], v[207:208], s[44:45], v[78:79]
	;; [unrolled: 4-line block ×4, first 2 shown]
	v_add_f64 v[100:101], v[233:234], v[100:101]
	v_add_f64 v[102:103], v[227:228], v[102:103]
	v_fma_f64 v[233:234], v[225:226], s[48:49], v[80:81]
	v_fma_f64 v[227:228], v[229:230], s[38:39], v[86:87]
	v_add_f64 v[8:9], v[251:252], v[100:101]
	v_add_f64 v[102:103], v[233:234], v[102:103]
	;; [unrolled: 1-line block ×3, first 2 shown]
	buffer_store_dword v8, off, s[60:63], 0 offset:28 ; 4-byte Folded Spill
	buffer_store_dword v9, off, s[60:63], 0 offset:32 ; 4-byte Folded Spill
	;; [unrolled: 1-line block ×4, first 2 shown]
	s_waitcnt_vscnt null, 0x0
	s_barrier
	buffer_gl0_inv
	s_and_saveexec_b32 s1, vcc_lo
	s_cbranch_execz .LBB0_17
; %bb.16:
	v_add_f64 v[162:163], v[106:107], v[162:163]
	v_add_f64 v[160:161], v[104:105], v[160:161]
	s_mov_b32 s57, 0xbfeec746
	s_mov_b32 s56, s34
	;; [unrolled: 1-line block ×8, first 2 shown]
	v_mul_f64 v[84:85], v[219:220], s[18:19]
	v_mul_f64 v[233:234], v[229:230], s[54:55]
	;; [unrolled: 1-line block ×7, first 2 shown]
	v_mov_b32_e32 v103, v25
	v_mov_b32_e32 v102, v24
	v_mov_b32_e32 v101, v23
	v_mov_b32_e32 v100, v22
	v_mul_f64 v[24:25], v[205:206], s[34:35]
	v_add_f64 v[158:159], v[162:163], v[158:159]
	v_add_f64 v[156:157], v[160:161], v[156:157]
	v_fma_f64 v[58:59], v[191:192], s[30:31], v[223:224]
	v_fma_f64 v[62:63], v[201:202], s[10:11], -v[221:222]
	v_fma_f64 v[10:11], v[169:170], s[8:9], v[8:9]
	v_fma_f64 v[8:9], v[169:170], s[8:9], -v[8:9]
	v_add_f64 v[150:151], v[158:159], v[150:151]
	v_add_f64 v[148:149], v[156:157], v[148:149]
	;; [unrolled: 1-line block ×8, first 2 shown]
	v_mul_f64 v[144:145], v[237:238], s[56:57]
	v_mul_f64 v[146:147], v[237:238], s[50:51]
	v_add_f64 v[138:139], v[138:139], v[142:143]
	v_add_f64 v[136:137], v[136:137], v[140:141]
	v_mul_f64 v[142:143], v[237:238], s[40:41]
	v_mul_f64 v[140:141], v[237:238], s[18:19]
	v_fma_f64 v[156:157], v[235:236], s[20:21], -v[144:145]
	v_fma_f64 v[144:145], v[235:236], s[20:21], v[144:145]
	v_fma_f64 v[158:159], v[235:236], s[24:25], v[146:147]
	v_fma_f64 v[146:147], v[235:236], s[24:25], -v[146:147]
	v_add_f64 v[134:135], v[138:139], v[134:135]
	v_add_f64 v[132:133], v[136:137], v[132:133]
	v_fma_f64 v[154:155], v[235:236], s[26:27], v[142:143]
	v_fma_f64 v[142:143], v[235:236], s[26:27], -v[142:143]
	v_mul_f64 v[136:137], v[237:238], s[22:23]
	v_mul_f64 v[138:139], v[237:238], s[42:43]
	v_fma_f64 v[152:153], v[235:236], s[8:9], -v[140:141]
	v_fma_f64 v[140:141], v[235:236], s[8:9], v[140:141]
	v_add_f64 v[126:127], v[134:135], v[126:127]
	v_add_f64 v[124:125], v[132:133], v[124:125]
	v_fma_f64 v[148:149], v[235:236], s[10:11], -v[136:137]
	v_fma_f64 v[136:137], v[235:236], s[10:11], v[136:137]
	v_fma_f64 v[150:151], v[235:236], s[30:31], -v[138:139]
	v_fma_f64 v[138:139], v[235:236], s[30:31], v[138:139]
	v_add_f64 v[152:153], v[104:105], v[152:153]
	v_add_f64 v[140:141], v[104:105], v[140:141]
	;; [unrolled: 1-line block ×12, first 2 shown]
	v_mul_f64 v[120:121], v[203:204], s[56:57]
	v_mul_f64 v[122:123], v[203:204], s[50:51]
	v_add_f64 v[114:115], v[114:115], v[118:119]
	v_add_f64 v[112:113], v[112:113], v[116:117]
	v_mul_f64 v[118:119], v[203:204], s[40:41]
	v_mul_f64 v[116:117], v[203:204], s[18:19]
	v_fma_f64 v[132:133], v[253:254], s[20:21], v[120:121]
	v_fma_f64 v[120:121], v[253:254], s[20:21], -v[120:121]
	v_fma_f64 v[134:135], v[253:254], s[24:25], -v[122:123]
	v_fma_f64 v[122:123], v[253:254], s[24:25], v[122:123]
	v_add_f64 v[110:111], v[114:115], v[110:111]
	v_add_f64 v[108:109], v[112:113], v[108:109]
	v_fma_f64 v[130:131], v[253:254], s[26:27], -v[118:119]
	v_fma_f64 v[118:119], v[253:254], s[26:27], v[118:119]
	v_mul_f64 v[112:113], v[203:204], s[22:23]
	v_fma_f64 v[128:129], v[253:254], s[8:9], v[116:117]
	v_fma_f64 v[116:117], v[253:254], s[8:9], -v[116:117]
	v_mul_f64 v[114:115], v[203:204], s[42:43]
	v_add_f64 v[227:228], v[106:107], v[132:133]
	v_add_f64 v[132:133], v[106:107], v[120:121]
	v_add_f64 v[120:121], v[106:107], v[134:135]
	v_add_f64 v[134:135], v[104:105], v[158:159]
	v_add_f64 v[158:159], v[106:107], v[122:123]
	v_add_f64 v[6:7], v[110:111], v[6:7]
	v_add_f64 v[4:5], v[108:109], v[4:5]
	v_mul_f64 v[110:111], v[235:236], s[2:3]
	v_mul_f64 v[108:109], v[203:204], s[16:17]
	v_fma_f64 v[124:125], v[253:254], s[10:11], v[112:113]
	v_fma_f64 v[112:113], v[253:254], s[10:11], -v[112:113]
	v_add_f64 v[162:163], v[106:107], v[116:117]
	v_add_f64 v[116:117], v[106:107], v[130:131]
	;; [unrolled: 1-line block ×3, first 2 shown]
	v_fma_f64 v[126:127], v[253:254], s[30:31], v[114:115]
	v_fma_f64 v[114:115], v[253:254], s[30:31], -v[114:115]
	v_add_f64 v[160:161], v[106:107], v[128:129]
	v_add_f64 v[2:3], v[6:7], v[2:3]
	;; [unrolled: 1-line block ×3, first 2 shown]
	v_mul_f64 v[6:7], v[235:236], s[28:29]
	v_mul_f64 v[4:5], v[203:204], s[46:47]
	v_add_f64 v[110:111], v[110:111], v[12:13]
	v_add_f64 v[108:109], v[209:210], -v[108:109]
	v_add_f64 v[235:236], v[104:105], v[156:157]
	v_add_f64 v[124:125], v[106:107], v[124:125]
	;; [unrolled: 1-line block ×5, first 2 shown]
	v_mul_f64 v[12:13], v[207:208], s[22:23]
	v_mov_b32_e32 v157, v29
	v_mov_b32_e32 v156, v28
	;; [unrolled: 1-line block ×4, first 2 shown]
	v_fma_f64 v[26:27], v[187:188], s[20:21], v[24:25]
	v_mul_f64 v[28:29], v[213:214], s[52:53]
	buffer_store_dword v0, off, s[60:63], 0 offset:284 ; 4-byte Folded Spill
	buffer_store_dword v1, off, s[60:63], 0 offset:288 ; 4-byte Folded Spill
	;; [unrolled: 1-line block ×4, first 2 shown]
	v_add_f64 v[0:1], v[106:107], v[118:119]
	v_add_f64 v[6:7], v[6:7], v[211:212]
	v_add_f64 v[4:5], v[54:55], -v[4:5]
	v_add_f64 v[211:212], v[104:105], v[110:111]
	v_add_f64 v[209:210], v[106:107], v[108:109]
	v_mul_f64 v[108:109], v[195:196], s[42:43]
	v_mov_b32_e32 v52, v239
	v_mov_b32_e32 v53, v240
	;; [unrolled: 1-line block ×4, first 2 shown]
	v_mul_f64 v[239:240], v[217:218], s[54:55]
	v_mul_f64 v[241:242], v[193:194], s[46:47]
	;; [unrolled: 1-line block ×3, first 2 shown]
	buffer_store_dword v0, off, s[60:63], 0 offset:308 ; 4-byte Folded Spill
	buffer_store_dword v1, off, s[60:63], 0 offset:312 ; 4-byte Folded Spill
	v_add_f64 v[0:1], v[104:105], v[142:143]
	v_add_f64 v[203:204], v[104:105], v[6:7]
	;; [unrolled: 1-line block ×4, first 2 shown]
	v_mul_f64 v[106:107], v[181:182], s[44:45]
	v_fma_f64 v[110:111], v[171:172], s[30:31], v[108:109]
	v_fma_f64 v[108:109], v[171:172], s[30:31], -v[108:109]
	buffer_store_dword v0, off, s[60:63], 0 offset:300 ; 4-byte Folded Spill
	buffer_store_dword v1, off, s[60:63], 0 offset:304 ; 4-byte Folded Spill
	v_add_f64 v[0:1], v[104:105], v[146:147]
	v_mul_f64 v[104:105], v[183:184], s[44:45]
	buffer_store_dword v0, off, s[60:63], 0 offset:316 ; 4-byte Folded Spill
	buffer_store_dword v1, off, s[60:63], 0 offset:320 ; 4-byte Folded Spill
	v_fma_f64 v[4:5], v[167:168], s[26:27], v[104:105]
	v_fma_f64 v[6:7], v[165:166], s[26:27], -v[106:107]
	v_fma_f64 v[104:105], v[167:168], s[26:27], -v[104:105]
	v_fma_f64 v[106:107], v[165:166], s[26:27], v[106:107]
	v_mul_f64 v[0:1], v[215:216], s[56:57]
	v_add_f64 v[4:5], v[4:5], v[124:125]
	v_add_f64 v[6:7], v[6:7], v[148:149]
	;; [unrolled: 1-line block ×4, first 2 shown]
	v_mul_f64 v[112:113], v[183:184], s[52:53]
	v_add_f64 v[4:5], v[110:111], v[4:5]
	v_mul_f64 v[110:111], v[60:61], s[42:43]
	v_add_f64 v[104:105], v[108:109], v[104:105]
	v_fma_f64 v[118:119], v[169:170], s[30:31], -v[110:111]
	v_fma_f64 v[108:109], v[169:170], s[30:31], v[110:111]
	v_fma_f64 v[110:111], v[199:200], s[28:29], v[239:240]
	v_add_f64 v[6:7], v[118:119], v[6:7]
	v_mul_f64 v[118:119], v[207:208], s[38:39]
	v_add_f64 v[106:107], v[108:109], v[106:107]
	v_fma_f64 v[122:123], v[177:178], s[24:25], v[118:119]
	v_fma_f64 v[108:109], v[177:178], s[24:25], -v[118:119]
	v_mul_f64 v[118:119], v[181:182], s[52:53]
	v_add_f64 v[4:5], v[122:123], v[4:5]
	v_mul_f64 v[122:123], v[193:194], s[38:39]
	v_add_f64 v[104:105], v[108:109], v[104:105]
	v_fma_f64 v[124:125], v[173:174], s[24:25], -v[122:123]
	v_fma_f64 v[108:109], v[173:174], s[24:25], v[122:123]
	v_mul_f64 v[122:123], v[195:196], s[46:47]
	v_add_f64 v[6:7], v[124:125], v[6:7]
	v_mul_f64 v[124:125], v[215:216], s[18:19]
	v_add_f64 v[106:107], v[108:109], v[106:107]
	v_fma_f64 v[144:145], v[185:186], s[8:9], v[124:125]
	v_fma_f64 v[108:109], v[185:186], s[8:9], -v[124:125]
	v_fma_f64 v[124:125], v[171:172], s[28:29], v[122:123]
	v_add_f64 v[4:5], v[144:145], v[4:5]
	v_mul_f64 v[144:145], v[64:65], s[18:19]
	v_add_f64 v[104:105], v[108:109], v[104:105]
	v_fma_f64 v[146:147], v[179:180], s[8:9], -v[144:145]
	v_fma_f64 v[108:109], v[179:180], s[8:9], v[144:145]
	v_add_f64 v[6:7], v[146:147], v[6:7]
	v_mul_f64 v[146:147], v[219:220], s[52:53]
	v_add_f64 v[106:107], v[108:109], v[106:107]
	v_fma_f64 v[148:149], v[189:190], s[2:3], v[146:147]
	v_fma_f64 v[108:109], v[189:190], s[2:3], -v[146:147]
	v_add_f64 v[4:5], v[148:149], v[4:5]
	v_mul_f64 v[148:149], v[205:206], s[52:53]
	v_add_f64 v[104:105], v[108:109], v[104:105]
	v_fma_f64 v[237:238], v[187:188], s[2:3], -v[148:149]
	v_fma_f64 v[108:109], v[187:188], s[2:3], v[148:149]
	v_add_f64 v[6:7], v[237:238], v[6:7]
	v_mul_f64 v[237:238], v[225:226], s[56:57]
	v_add_f64 v[106:107], v[108:109], v[106:107]
	v_fma_f64 v[253:254], v[197:198], s[20:21], v[237:238]
	v_fma_f64 v[108:109], v[197:198], s[20:21], -v[237:238]
	v_add_f64 v[4:5], v[253:254], v[4:5]
	v_mul_f64 v[253:254], v[213:214], s[56:57]
	v_add_f64 v[104:105], v[108:109], v[104:105]
	v_fma_f64 v[108:109], v[191:192], s[20:21], v[253:254]
	v_fma_f64 v[231:232], v[191:192], s[20:21], -v[253:254]
	v_mul_f64 v[253:254], v[217:218], s[56:57]
	v_add_f64 v[108:109], v[108:109], v[106:107]
	v_fma_f64 v[106:107], v[201:202], s[28:29], -v[233:234]
	v_add_f64 v[231:232], v[231:232], v[6:7]
	v_fma_f64 v[6:7], v[201:202], s[28:29], v[233:234]
	v_add_f64 v[106:107], v[106:107], v[104:105]
	v_add_f64 v[104:105], v[110:111], v[108:109]
	v_fma_f64 v[108:109], v[167:168], s[2:3], v[112:113]
	v_fma_f64 v[110:111], v[165:166], s[2:3], -v[118:119]
	v_fma_f64 v[112:113], v[167:168], s[2:3], -v[112:113]
	v_add_f64 v[6:7], v[6:7], v[4:5]
	v_fma_f64 v[4:5], v[199:200], s[28:29], -v[239:240]
	v_mul_f64 v[239:240], v[229:230], s[56:57]
	s_mov_b32 s57, 0x3fe0d888
	s_mov_b32 s56, s42
	v_add_f64 v[108:109], v[108:109], v[126:127]
	v_add_f64 v[110:111], v[110:111], v[150:151]
	;; [unrolled: 1-line block ×3, first 2 shown]
	v_fma_f64 v[114:115], v[165:166], s[2:3], v[118:119]
	v_fma_f64 v[118:119], v[171:172], s[28:29], -v[122:123]
	v_add_f64 v[4:5], v[4:5], v[231:232]
	v_fma_f64 v[122:123], v[199:200], s[20:21], v[253:254]
	v_add_f64 v[108:109], v[124:125], v[108:109]
	v_mul_f64 v[124:125], v[60:61], s[46:47]
	v_add_f64 v[114:115], v[114:115], v[138:139]
	v_add_f64 v[112:113], v[118:119], v[112:113]
	v_mov_b32_e32 v139, v17
	v_mov_b32_e32 v138, v16
	v_mul_f64 v[16:17], v[193:194], s[22:23]
	v_fma_f64 v[126:127], v[169:170], s[28:29], -v[124:125]
	v_fma_f64 v[118:119], v[169:170], s[28:29], v[124:125]
	v_add_f64 v[110:111], v[126:127], v[110:111]
	v_mul_f64 v[126:127], v[207:208], s[48:49]
	v_add_f64 v[114:115], v[118:119], v[114:115]
	v_fma_f64 v[136:137], v[177:178], s[8:9], v[126:127]
	v_fma_f64 v[118:119], v[177:178], s[8:9], -v[126:127]
	v_mul_f64 v[126:127], v[165:166], s[8:9]
	v_add_f64 v[108:109], v[136:137], v[108:109]
	v_mul_f64 v[136:137], v[193:194], s[48:49]
	v_add_f64 v[112:113], v[118:119], v[112:113]
	v_fma_f64 v[144:145], v[173:174], s[8:9], -v[136:137]
	v_fma_f64 v[118:119], v[173:174], s[8:9], v[136:137]
	v_mov_b32_e32 v137, v15
	v_mov_b32_e32 v136, v14
	v_fma_f64 v[14:15], v[177:178], s[10:11], -v[12:13]
	v_fma_f64 v[12:13], v[177:178], s[10:11], v[12:13]
	v_add_f64 v[110:111], v[144:145], v[110:111]
	v_mul_f64 v[144:145], v[215:216], s[40:41]
	v_add_f64 v[114:115], v[118:119], v[114:115]
	v_fma_f64 v[146:147], v[185:186], s[26:27], v[144:145]
	v_fma_f64 v[118:119], v[185:186], s[26:27], -v[144:145]
	v_mov_b32_e32 v145, v19
	v_mov_b32_e32 v144, v18
	v_fma_f64 v[18:19], v[173:174], s[10:11], v[16:17]
	v_add_f64 v[108:109], v[146:147], v[108:109]
	v_mul_f64 v[146:147], v[64:65], s[40:41]
	v_add_f64 v[112:113], v[118:119], v[112:113]
	v_fma_f64 v[148:149], v[179:180], s[26:27], -v[146:147]
	v_fma_f64 v[118:119], v[179:180], s[26:27], v[146:147]
	v_mov_b32_e32 v147, v21
	v_mov_b32_e32 v146, v20
	v_mul_f64 v[20:21], v[64:65], s[56:57]
	v_add_f64 v[110:111], v[148:149], v[110:111]
	v_mul_f64 v[148:149], v[219:220], s[22:23]
	v_add_f64 v[114:115], v[118:119], v[114:115]
	v_fma_f64 v[22:23], v[179:180], s[30:31], v[20:21]
	v_fma_f64 v[150:151], v[189:190], s[10:11], v[148:149]
	v_fma_f64 v[118:119], v[189:190], s[10:11], -v[148:149]
	v_mul_f64 v[148:149], v[181:182], s[46:47]
	v_add_f64 v[108:109], v[150:151], v[108:109]
	v_mul_f64 v[150:151], v[205:206], s[22:23]
	v_add_f64 v[112:113], v[118:119], v[112:113]
	v_fma_f64 v[231:232], v[187:188], s[10:11], -v[150:151]
	v_fma_f64 v[118:119], v[187:188], s[10:11], v[150:151]
	v_mul_f64 v[150:151], v[195:196], s[18:19]
	v_add_f64 v[110:111], v[231:232], v[110:111]
	v_mul_f64 v[231:232], v[225:226], s[38:39]
	v_add_f64 v[114:115], v[118:119], v[114:115]
	v_fma_f64 v[124:125], v[171:172], s[8:9], -v[150:151]
	v_fma_f64 v[233:234], v[197:198], s[24:25], v[231:232]
	v_fma_f64 v[118:119], v[197:198], s[24:25], -v[231:232]
	v_mul_f64 v[231:232], v[183:184], s[50:51]
	v_add_f64 v[108:109], v[233:234], v[108:109]
	v_mul_f64 v[233:234], v[213:214], s[38:39]
	v_add_f64 v[112:113], v[118:119], v[112:113]
	v_fma_f64 v[237:238], v[191:192], s[24:25], -v[233:234]
	v_fma_f64 v[118:119], v[191:192], s[24:25], v[233:234]
	v_mul_f64 v[233:234], v[181:182], s[50:51]
	v_add_f64 v[237:238], v[237:238], v[110:111]
	v_fma_f64 v[110:111], v[201:202], s[20:21], v[239:240]
	v_add_f64 v[118:119], v[118:119], v[114:115]
	v_fma_f64 v[114:115], v[201:202], s[20:21], -v[239:240]
	v_mul_f64 v[239:240], v[60:61], s[16:17]
	v_add_f64 v[110:111], v[110:111], v[108:109]
	v_fma_f64 v[108:109], v[199:200], s[20:21], -v[253:254]
	v_add_f64 v[114:115], v[114:115], v[112:113]
	v_add_f64 v[112:113], v[122:123], v[118:119]
	v_fma_f64 v[118:119], v[167:168], s[24:25], -v[231:232]
	v_mul_f64 v[253:254], v[207:208], s[46:47]
	v_add_f64 v[108:109], v[108:109], v[237:238]
	v_mul_f64 v[237:238], v[195:196], s[16:17]
	v_add_f64 v[116:117], v[118:119], v[116:117]
	v_fma_f64 v[118:119], v[165:166], s[24:25], v[233:234]
	v_fma_f64 v[122:123], v[171:172], s[2:3], -v[237:238]
	v_add_f64 v[118:119], v[118:119], v[130:131]
	v_mov_b32_e32 v131, v33
	v_mov_b32_e32 v130, v32
	v_mov_b32_e32 v33, v31
	v_mov_b32_e32 v32, v30
	v_fma_f64 v[30:31], v[191:192], s[2:3], v[28:29]
	v_add_f64 v[126:127], v[126:127], v[130:131]
	v_mul_f64 v[130:131], v[207:208], s[34:35]
	v_add_f64 v[116:117], v[122:123], v[116:117]
	v_fma_f64 v[122:123], v[169:170], s[2:3], v[239:240]
	v_add_f64 v[126:127], v[126:127], v[211:212]
	v_add_f64 v[130:131], v[44:45], -v[130:131]
	v_mul_f64 v[211:212], v[60:61], s[38:39]
	v_mul_f64 v[44:45], v[205:206], s[54:55]
	;; [unrolled: 1-line block ×3, first 2 shown]
	v_add_f64 v[118:119], v[122:123], v[118:119]
	v_fma_f64 v[122:123], v[177:178], s[28:29], -v[253:254]
	v_add_f64 v[116:117], v[122:123], v[116:117]
	v_fma_f64 v[122:123], v[173:174], s[28:29], v[241:242]
	v_add_f64 v[118:119], v[122:123], v[118:119]
	v_fma_f64 v[122:123], v[185:186], s[20:21], -v[0:1]
	v_add_f64 v[116:117], v[122:123], v[116:117]
	v_fma_f64 v[122:123], v[179:180], s[20:21], v[2:3]
	;; [unrolled: 4-line block ×3, first 2 shown]
	v_add_f64 v[118:119], v[122:123], v[118:119]
	v_fma_f64 v[122:123], v[197:198], s[30:31], -v[251:252]
	v_add_f64 v[58:59], v[58:59], v[118:119]
	v_add_f64 v[116:117], v[122:123], v[116:117]
	;; [unrolled: 1-line block ×3, first 2 shown]
	v_mul_f64 v[62:63], v[217:218], s[22:23]
	v_fma_f64 v[116:117], v[199:200], s[10:11], v[62:63]
	v_add_f64 v[116:117], v[116:117], v[58:59]
	v_mul_f64 v[58:59], v[183:184], s[46:47]
	v_fma_f64 v[122:123], v[167:168], s[28:29], -v[58:59]
	v_add_f64 v[120:121], v[122:123], v[120:121]
	v_fma_f64 v[122:123], v[165:166], s[28:29], v[148:149]
	v_add_f64 v[120:121], v[124:125], v[120:121]
	v_add_f64 v[122:123], v[122:123], v[134:135]
	v_mul_f64 v[124:125], v[195:196], s[36:37]
	v_mul_f64 v[134:135], v[215:216], s[38:39]
	v_add_f64 v[14:15], v[14:15], v[120:121]
	v_add_f64 v[10:11], v[10:11], v[122:123]
	v_add_f64 v[124:125], v[40:41], -v[124:125]
	v_add_f64 v[134:135], v[48:49], -v[134:135]
	v_mul_f64 v[40:41], v[64:65], s[22:23]
	v_mul_f64 v[48:49], v[229:230], s[18:19]
	v_add_f64 v[10:11], v[18:19], v[10:11]
	v_mul_f64 v[18:19], v[215:216], s[56:57]
	v_add_f64 v[10:11], v[22:23], v[10:11]
	v_fma_f64 v[120:121], v[185:186], s[30:31], -v[18:19]
	v_mul_f64 v[22:23], v[219:220], s[34:35]
	v_add_f64 v[10:11], v[26:27], v[10:11]
	v_add_f64 v[14:15], v[120:121], v[14:15]
	v_fma_f64 v[120:121], v[189:190], s[20:21], -v[22:23]
	v_mul_f64 v[26:27], v[225:226], s[52:53]
	v_add_f64 v[10:11], v[30:31], v[10:11]
	v_mul_f64 v[30:31], v[229:230], s[44:45]
	v_add_f64 v[14:15], v[120:121], v[14:15]
	v_fma_f64 v[120:121], v[197:198], s[2:3], -v[26:27]
	v_add_f64 v[14:15], v[120:121], v[14:15]
	v_fma_f64 v[120:121], v[201:202], s[26:27], -v[30:31]
	v_add_f64 v[122:123], v[120:121], v[14:15]
	v_mul_f64 v[14:15], v[217:218], s[44:45]
	v_fma_f64 v[120:121], v[199:200], s[26:27], v[14:15]
	v_fma_f64 v[14:15], v[199:200], s[26:27], -v[14:15]
	v_add_f64 v[120:121], v[120:121], v[10:11]
	v_mul_f64 v[10:11], v[183:184], s[18:19]
	v_add_f64 v[10:11], v[36:37], -v[10:11]
	v_mul_f64 v[36:37], v[193:194], s[16:17]
	v_add_f64 v[10:11], v[10:11], v[209:210]
	v_mul_f64 v[209:210], v[215:216], s[22:23]
	v_add_f64 v[10:11], v[124:125], v[10:11]
	;; [unrolled: 2-line block ×3, first 2 shown]
	v_add_f64 v[124:125], v[124:125], v[34:35]
	v_mul_f64 v[130:131], v[173:174], s[20:21]
	v_add_f64 v[10:11], v[134:135], v[10:11]
	v_add_f64 v[124:125], v[124:125], v[126:127]
	v_mul_f64 v[126:127], v[219:220], s[40:41]
	v_add_f64 v[130:131], v[130:131], v[38:39]
	v_mul_f64 v[134:135], v[179:180], s[24:25]
	v_fma_f64 v[38:39], v[173:174], s[2:3], v[36:37]
	v_fma_f64 v[36:37], v[173:174], s[2:3], -v[36:37]
	v_add_f64 v[126:127], v[136:137], -v[126:127]
	v_add_f64 v[124:125], v[130:131], v[124:125]
	v_add_f64 v[134:135], v[134:135], v[42:43]
	v_mul_f64 v[130:131], v[225:226], s[46:47]
	v_mul_f64 v[136:137], v[215:216], s[16:17]
	v_fma_f64 v[42:43], v[179:180], s[10:11], v[40:41]
	v_add_f64 v[10:11], v[126:127], v[10:11]
	v_mul_f64 v[126:127], v[187:188], s[26:27]
	v_add_f64 v[124:125], v[134:135], v[124:125]
	v_add_f64 v[130:131], v[146:147], -v[130:131]
	v_mul_f64 v[134:135], v[191:192], s[28:29]
	v_add_f64 v[136:137], v[76:77], -v[136:137]
	v_mul_f64 v[146:147], v[207:208], s[16:17]
	v_add_f64 v[126:127], v[126:127], v[46:47]
	v_fma_f64 v[46:47], v[187:188], s[28:29], v[44:45]
	v_add_f64 v[10:11], v[130:131], v[10:11]
	v_add_f64 v[134:135], v[134:135], v[50:51]
	v_mul_f64 v[130:131], v[199:200], s[30:31]
	v_fma_f64 v[50:51], v[201:202], s[8:9], -v[48:49]
	v_add_f64 v[124:125], v[126:127], v[124:125]
	v_mul_f64 v[126:127], v[229:230], s[42:43]
	v_add_f64 v[130:131], v[130:131], v[138:139]
	v_add_f64 v[124:125], v[134:135], v[124:125]
	v_add_f64 v[126:127], v[70:71], -v[126:127]
	v_mul_f64 v[134:135], v[207:208], s[44:45]
	v_add_f64 v[124:125], v[130:131], v[124:125]
	v_add_f64 v[126:127], v[126:127], v[10:11]
	v_mul_f64 v[10:11], v[183:184], s[22:23]
	v_mul_f64 v[130:131], v[195:196], s[34:35]
	v_add_f64 v[134:135], v[78:79], -v[134:135]
	v_add_f64 v[10:11], v[74:75], -v[10:11]
	;; [unrolled: 1-line block ×3, first 2 shown]
	v_add_f64 v[10:11], v[10:11], v[128:129]
	v_mul_f64 v[128:129], v[165:166], s[10:11]
	v_add_f64 v[10:11], v[130:131], v[10:11]
	v_add_f64 v[128:129], v[128:129], v[144:145]
	v_mul_f64 v[130:131], v[169:170], s[20:21]
	v_mul_f64 v[144:145], v[195:196], s[38:39]
	v_add_f64 v[10:11], v[134:135], v[10:11]
	v_add_f64 v[128:129], v[128:129], v[203:204]
	;; [unrolled: 1-line block ×3, first 2 shown]
	v_mul_f64 v[134:135], v[173:174], s[26:27]
	v_mul_f64 v[203:204], v[181:182], s[56:57]
	;; [unrolled: 1-line block ×3, first 2 shown]
	v_add_f64 v[10:11], v[136:137], v[10:11]
	v_mul_f64 v[136:137], v[179:180], s[2:3]
	v_add_f64 v[128:129], v[130:131], v[128:129]
	v_mul_f64 v[130:131], v[219:220], s[42:43]
	v_add_f64 v[134:135], v[134:135], v[175:176]
	v_fma_f64 v[34:35], v[189:190], s[28:29], -v[32:33]
	v_mul_f64 v[175:176], v[207:208], s[42:43]
	v_mul_f64 v[207:208], v[225:226], s[22:23]
	v_fma_f64 v[32:33], v[189:190], s[28:29], v[32:33]
	v_add_f64 v[136:137], v[136:137], v[56:57]
	v_add_f64 v[130:131], v[82:83], -v[130:131]
	v_add_f64 v[128:129], v[134:135], v[128:129]
	v_mul_f64 v[134:135], v[225:226], s[48:49]
	v_add_f64 v[10:11], v[130:131], v[10:11]
	v_mul_f64 v[130:131], v[187:188], s[30:31]
	v_add_f64 v[134:135], v[80:81], -v[134:135]
	v_add_f64 v[128:129], v[136:137], v[128:129]
	v_mul_f64 v[136:137], v[229:230], s[38:39]
	v_add_f64 v[130:131], v[130:131], v[66:67]
	v_add_f64 v[10:11], v[134:135], v[10:11]
	v_mul_f64 v[134:135], v[191:192], s[8:9]
	v_add_f64 v[136:137], v[86:87], -v[136:137]
	v_add_f64 v[128:129], v[130:131], v[128:129]
	v_mul_f64 v[130:131], v[199:200], s[24:25]
	v_add_f64 v[134:135], v[134:135], v[96:97]
	v_add_f64 v[138:139], v[130:131], v[68:69]
	;; [unrolled: 1-line block ×3, first 2 shown]
	v_mul_f64 v[10:11], v[183:184], s[56:57]
	v_add_f64 v[128:129], v[134:135], v[128:129]
	v_fma_f64 v[136:137], v[185:186], s[10:11], -v[209:210]
	v_fma_f64 v[134:135], v[167:168], s[30:31], -v[10:11]
	v_add_f64 v[128:129], v[138:139], v[128:129]
	v_fma_f64 v[10:11], v[167:168], s[30:31], v[10:11]
	v_add_f64 v[132:133], v[134:135], v[132:133]
	v_fma_f64 v[134:135], v[171:172], s[24:25], -v[144:145]
	v_add_f64 v[10:11], v[10:11], v[227:228]
	v_add_f64 v[132:133], v[134:135], v[132:133]
	v_fma_f64 v[134:135], v[177:178], s[2:3], -v[146:147]
	v_add_f64 v[132:133], v[134:135], v[132:133]
	v_fma_f64 v[134:135], v[165:166], s[30:31], v[203:204]
	v_add_f64 v[132:133], v[136:137], v[132:133]
	v_add_f64 v[134:135], v[134:135], v[142:143]
	v_fma_f64 v[136:137], v[169:170], s[24:25], v[211:212]
	v_mul_f64 v[142:143], v[181:182], s[34:35]
	v_mul_f64 v[181:182], v[193:194], s[42:43]
	;; [unrolled: 1-line block ×3, first 2 shown]
	v_add_f64 v[34:35], v[34:35], v[132:133]
	v_add_f64 v[134:135], v[136:137], v[134:135]
	v_fma_f64 v[136:137], v[165:166], s[20:21], v[142:143]
	v_add_f64 v[38:39], v[38:39], v[134:135]
	v_add_f64 v[136:137], v[136:137], v[140:141]
	v_mul_f64 v[140:141], v[195:196], s[40:41]
	v_mul_f64 v[195:196], v[219:220], s[50:51]
	v_add_f64 v[38:39], v[42:43], v[38:39]
	v_mul_f64 v[42:43], v[225:226], s[40:41]
	v_fma_f64 v[138:139], v[171:172], s[26:27], -v[140:141]
	v_fma_f64 v[140:141], v[171:172], s[26:27], v[140:141]
	v_add_f64 v[38:39], v[46:47], v[38:39]
	v_fma_f64 v[132:133], v[197:198], s[26:27], -v[42:43]
	v_mul_f64 v[46:47], v[213:214], s[40:41]
	v_mul_f64 v[213:214], v[213:214], s[22:23]
	v_add_f64 v[34:35], v[132:133], v[34:35]
	v_fma_f64 v[132:133], v[191:192], s[26:27], v[46:47]
	v_add_f64 v[134:135], v[50:51], v[34:35]
	v_mul_f64 v[34:35], v[217:218], s[18:19]
	v_add_f64 v[38:39], v[132:133], v[38:39]
	v_mul_f64 v[217:218], v[217:218], s[52:53]
	v_fma_f64 v[50:51], v[199:200], s[8:9], v[34:35]
	v_fma_f64 v[34:35], v[199:200], s[8:9], -v[34:35]
	v_add_f64 v[132:133], v[50:51], v[38:39]
	v_mul_f64 v[38:39], v[183:184], s[34:35]
	v_mul_f64 v[183:184], v[215:216], s[54:55]
	;; [unrolled: 1-line block ×3, first 2 shown]
	v_fma_f64 v[50:51], v[167:168], s[20:21], -v[38:39]
	v_fma_f64 v[38:39], v[167:168], s[20:21], v[38:39]
	v_add_f64 v[50:51], v[50:51], v[162:163]
	v_mul_f64 v[162:163], v[60:61], s[40:41]
	v_add_f64 v[38:39], v[38:39], v[160:161]
	v_add_f64 v[50:51], v[138:139], v[50:51]
	v_fma_f64 v[138:139], v[169:170], s[26:27], v[162:163]
	v_add_f64 v[38:39], v[140:141], v[38:39]
	v_fma_f64 v[140:141], v[169:170], s[26:27], -v[162:163]
	v_add_f64 v[136:137], v[138:139], v[136:137]
	v_fma_f64 v[138:139], v[177:178], s[30:31], -v[175:176]
	v_add_f64 v[50:51], v[138:139], v[50:51]
	v_fma_f64 v[138:139], v[173:174], s[30:31], v[181:182]
	v_add_f64 v[136:137], v[138:139], v[136:137]
	v_fma_f64 v[138:139], v[185:186], s[28:29], -v[183:184]
	v_add_f64 v[50:51], v[138:139], v[50:51]
	v_fma_f64 v[138:139], v[179:180], s[28:29], v[193:194]
	;; [unrolled: 4-line block ×5, first 2 shown]
	v_add_f64 v[136:137], v[50:51], v[136:137]
	v_fma_f64 v[50:51], v[165:166], s[20:21], -v[142:143]
	v_add_f64 v[50:51], v[50:51], v[152:153]
	v_fma_f64 v[152:153], v[199:200], s[2:3], -v[217:218]
	v_add_f64 v[50:51], v[140:141], v[50:51]
	v_fma_f64 v[140:141], v[177:178], s[30:31], v[175:176]
	v_add_f64 v[38:39], v[140:141], v[38:39]
	v_fma_f64 v[140:141], v[185:186], s[28:29], v[183:184]
	v_add_f64 v[38:39], v[140:141], v[38:39]
	v_fma_f64 v[140:141], v[173:174], s[30:31], -v[181:182]
	v_add_f64 v[50:51], v[140:141], v[50:51]
	v_fma_f64 v[140:141], v[189:190], s[24:25], v[195:196]
	v_add_f64 v[38:39], v[140:141], v[38:39]
	v_fma_f64 v[140:141], v[179:180], s[28:29], -v[193:194]
	;; [unrolled: 4-line block ×3, first 2 shown]
	v_add_f64 v[50:51], v[140:141], v[50:51]
	v_fma_f64 v[140:141], v[191:192], s[10:11], -v[213:214]
	v_add_f64 v[50:51], v[140:141], v[50:51]
	v_fma_f64 v[140:141], v[201:202], s[2:3], v[215:216]
	v_add_f64 v[142:143], v[140:141], v[38:39]
	v_fma_f64 v[38:39], v[171:172], s[24:25], v[144:145]
	;; [unrolled: 2-line block ×3, first 2 shown]
	v_add_f64 v[10:11], v[38:39], v[10:11]
	v_fma_f64 v[38:39], v[165:166], s[30:31], -v[203:204]
	v_add_f64 v[10:11], v[50:51], v[10:11]
	v_add_f64 v[38:39], v[38:39], v[235:236]
	v_fma_f64 v[50:51], v[169:170], s[24:25], -v[211:212]
	v_add_f64 v[38:39], v[50:51], v[38:39]
	v_fma_f64 v[50:51], v[185:186], s[10:11], v[209:210]
	v_add_f64 v[36:37], v[36:37], v[38:39]
	v_add_f64 v[10:11], v[50:51], v[10:11]
	;; [unrolled: 1-line block ×3, first 2 shown]
	v_fma_f64 v[32:33], v[179:180], s[10:11], -v[40:41]
	v_add_f64 v[32:33], v[32:33], v[36:37]
	v_fma_f64 v[36:37], v[197:198], s[26:27], v[42:43]
	v_add_f64 v[10:11], v[36:37], v[10:11]
	v_fma_f64 v[36:37], v[187:188], s[28:29], -v[44:45]
	v_add_f64 v[32:33], v[36:37], v[32:33]
	v_fma_f64 v[36:37], v[191:192], s[26:27], -v[46:47]
	v_add_f64 v[32:33], v[36:37], v[32:33]
	v_fma_f64 v[36:37], v[201:202], s[8:9], v[48:49]
	v_add_f64 v[144:145], v[34:35], v[32:33]
	s_clause 0x1
	buffer_load_dword v34, off, s[60:63], 0 offset:316
	buffer_load_dword v35, off, s[60:63], 0 offset:320
	v_add_f64 v[146:147], v[36:37], v[10:11]
	v_fma_f64 v[10:11], v[167:168], s[28:29], v[58:59]
	v_fma_f64 v[32:33], v[165:166], s[28:29], -v[148:149]
	v_add_f64 v[10:11], v[10:11], v[158:159]
	s_waitcnt vmcnt(0)
	v_add_f64 v[32:33], v[32:33], v[34:35]
	v_fma_f64 v[34:35], v[171:172], s[8:9], v[150:151]
	v_add_f64 v[8:9], v[8:9], v[32:33]
	v_add_f64 v[10:11], v[34:35], v[10:11]
	;; [unrolled: 1-line block ×3, first 2 shown]
	v_fma_f64 v[12:13], v[173:174], s[10:11], -v[16:17]
	v_add_f64 v[8:9], v[12:13], v[8:9]
	v_fma_f64 v[12:13], v[185:186], s[30:31], v[18:19]
	v_add_f64 v[10:11], v[12:13], v[10:11]
	v_fma_f64 v[12:13], v[179:180], s[30:31], -v[20:21]
	v_add_f64 v[8:9], v[12:13], v[8:9]
	v_fma_f64 v[12:13], v[189:190], s[20:21], v[22:23]
	v_add_f64 v[10:11], v[12:13], v[10:11]
	v_fma_f64 v[12:13], v[187:188], s[20:21], -v[24:25]
	v_mov_b32_e32 v22, v100
	v_mov_b32_e32 v23, v101
	;; [unrolled: 1-line block ×4, first 2 shown]
	v_add_f64 v[8:9], v[12:13], v[8:9]
	v_fma_f64 v[12:13], v[197:198], s[2:3], v[26:27]
	v_add_f64 v[10:11], v[12:13], v[10:11]
	v_fma_f64 v[12:13], v[191:192], s[2:3], -v[28:29]
	v_mov_b32_e32 v26, v154
	v_mov_b32_e32 v27, v155
	;; [unrolled: 1-line block ×4, first 2 shown]
	v_add_f64 v[8:9], v[12:13], v[8:9]
	v_fma_f64 v[12:13], v[201:202], s[26:27], v[30:31]
	v_add_f64 v[148:149], v[14:15], v[8:9]
	s_clause 0x3
	buffer_load_dword v14, off, s[60:63], 0 offset:308
	buffer_load_dword v15, off, s[60:63], 0 offset:312
	;; [unrolled: 1-line block ×4, first 2 shown]
	v_add_f64 v[150:151], v[12:13], v[10:11]
	v_fma_f64 v[8:9], v[167:168], s[24:25], v[231:232]
	v_fma_f64 v[10:11], v[165:166], s[24:25], -v[233:234]
	v_fma_f64 v[12:13], v[171:172], s[2:3], v[237:238]
	s_waitcnt vmcnt(2)
	v_add_f64 v[8:9], v[8:9], v[14:15]
	v_fma_f64 v[14:15], v[169:170], s[2:3], -v[239:240]
	s_waitcnt vmcnt(0)
	v_add_f64 v[10:11], v[10:11], v[16:17]
	v_fma_f64 v[16:17], v[177:178], s[28:29], v[253:254]
	v_add_f64 v[8:9], v[12:13], v[8:9]
	v_fma_f64 v[12:13], v[173:174], s[28:29], -v[241:242]
	v_add_f64 v[10:11], v[14:15], v[10:11]
	v_fma_f64 v[14:15], v[185:186], s[20:21], v[0:1]
	v_mov_b32_e32 v242, v55
	v_mov_b32_e32 v241, v54
	;; [unrolled: 1-line block ×4, first 2 shown]
	v_add_f64 v[8:9], v[16:17], v[8:9]
	v_fma_f64 v[16:17], v[179:180], s[20:21], -v[2:3]
	v_add_f64 v[10:11], v[12:13], v[10:11]
	v_fma_f64 v[12:13], v[189:190], s[8:9], v[84:85]
	v_add_f64 v[8:9], v[14:15], v[8:9]
	v_fma_f64 v[14:15], v[187:188], s[8:9], -v[98:99]
	v_add_f64 v[10:11], v[16:17], v[10:11]
	v_fma_f64 v[16:17], v[197:198], s[30:31], v[251:252]
	;; [unrolled: 4-line block ×3, first 2 shown]
	v_add_f64 v[8:9], v[16:17], v[8:9]
	v_fma_f64 v[16:17], v[199:200], s[10:11], -v[62:63]
	v_add_f64 v[10:11], v[12:13], v[10:11]
	s_clause 0x4
	buffer_load_dword v12, off, s[60:63], 0
	buffer_load_dword v0, off, s[60:63], 0 offset:284
	buffer_load_dword v1, off, s[60:63], 0 offset:288
	;; [unrolled: 1-line block ×4, first 2 shown]
	v_mov_b32_e32 v13, 4
	v_add_f64 v[154:155], v[14:15], v[8:9]
	v_add_f64 v[152:153], v[16:17], v[10:11]
	s_waitcnt vmcnt(4)
	v_mul_lo_u16 v12, v12, 17
	v_lshlrev_b32_sdwa v8, v13, v12 dst_sel:DWORD dst_unused:UNUSED_PAD src0_sel:DWORD src1_sel:WORD_0
	s_waitcnt vmcnt(0)
	ds_write_b128 v8, v[0:3]
	ds_write_b128 v8, v[116:119] offset:16
	ds_write_b128 v8, v[120:123] offset:32
	;; [unrolled: 1-line block ×12, first 2 shown]
	s_clause 0x3
	buffer_load_dword v0, off, s[60:63], 0 offset:28
	buffer_load_dword v1, off, s[60:63], 0 offset:32
	;; [unrolled: 1-line block ×4, first 2 shown]
	s_waitcnt vmcnt(0)
	ds_write_b128 v8, v[0:3] offset:208
	s_clause 0x3
	buffer_load_dword v0, off, s[60:63], 0 offset:12
	buffer_load_dword v1, off, s[60:63], 0 offset:16
	;; [unrolled: 1-line block ×4, first 2 shown]
	s_waitcnt vmcnt(0)
	ds_write_b128 v8, v[0:3] offset:224
	ds_write_b128 v8, v[148:151] offset:240
	;; [unrolled: 1-line block ×3, first 2 shown]
.LBB0_17:
	s_or_b32 exec_lo, exec_lo, s1
	s_waitcnt lgkmcnt(0)
	s_waitcnt_vscnt null, 0x0
	s_barrier
	buffer_gl0_inv
	ds_read_b128 v[4:7], v255 offset:816
	ds_read_b128 v[0:3], v255
	ds_read_b128 v[104:107], v255 offset:1632
	ds_read_b128 v[108:111], v255 offset:2448
	;; [unrolled: 1-line block ×11, first 2 shown]
	s_clause 0x7
	buffer_load_dword v152, off, s[60:63], 0 offset:140
	buffer_load_dword v153, off, s[60:63], 0 offset:144
	;; [unrolled: 1-line block ×8, first 2 shown]
	s_mov_b32 s8, 0x4267c47c
	s_mov_b32 s10, 0xe00740e9
	;; [unrolled: 1-line block ×5, first 2 shown]
	s_waitcnt lgkmcnt(12)
	v_mul_f64 v[10:11], v[28:29], v[4:5]
	v_mul_f64 v[8:9], v[28:29], v[6:7]
	s_waitcnt lgkmcnt(10)
	v_mul_f64 v[12:13], v[24:25], v[106:107]
	v_mul_f64 v[14:15], v[24:25], v[104:105]
	s_waitcnt lgkmcnt(8)
	v_mul_f64 v[30:31], v[241:242], v[112:113]
	v_mul_f64 v[24:25], v[241:242], v[114:115]
	s_mov_b32 s24, 0xebaa3ed8
	s_mov_b32 s28, 0x2ef20147
	s_waitcnt lgkmcnt(4)
	v_mul_f64 v[58:59], v[249:250], v[128:129]
	v_mul_f64 v[56:57], v[249:250], v[130:131]
	s_mov_b32 s40, 0xd0032e0c
	s_mov_b32 s9, 0xbfddbe06
	;; [unrolled: 1-line block ×12, first 2 shown]
	v_fma_f64 v[6:7], v[26:27], v[6:7], -v[10:11]
	v_fma_f64 v[16:17], v[26:27], v[4:5], v[8:9]
	v_fma_f64 v[12:13], v[22:23], v[104:105], v[12:13]
	v_fma_f64 v[14:15], v[22:23], v[106:107], -v[14:15]
	s_clause 0x13
	buffer_load_dword v104, off, s[60:63], 0 offset:76
	buffer_load_dword v105, off, s[60:63], 0 offset:80
	;; [unrolled: 1-line block ×20, first 2 shown]
	v_mul_f64 v[10:11], v[245:246], v[108:109]
	v_mul_f64 v[8:9], v[245:246], v[110:111]
	v_fma_f64 v[30:31], v[239:240], v[114:115], -v[30:31]
	v_fma_f64 v[24:25], v[239:240], v[112:113], v[24:25]
	s_mov_b32 s44, 0x93053d00
	s_mov_b32 s31, 0xbfd6b1d8
	;; [unrolled: 1-line block ×9, first 2 shown]
	v_add_f64 v[22:23], v[2:3], v[6:7]
	v_add_f64 v[20:21], v[0:1], v[16:17]
	s_mov_b32 s2, s8
	s_mov_b32 s16, s18
	;; [unrolled: 1-line block ×7, first 2 shown]
	v_fma_f64 v[62:63], v[243:244], v[110:111], -v[10:11]
	v_fma_f64 v[60:61], v[243:244], v[108:109], v[8:9]
	s_mov_b32 s46, s38
	s_waitcnt vmcnt(0) lgkmcnt(0)
	s_barrier
	buffer_gl0_inv
	v_add_f64 v[22:23], v[22:23], v[14:15]
	v_add_f64 v[20:21], v[20:21], v[12:13]
	;; [unrolled: 1-line block ×6, first 2 shown]
	v_mul_f64 v[4:5], v[154:155], v[144:145]
	v_mul_f64 v[18:19], v[154:155], v[146:147]
	;; [unrolled: 1-line block ×4, first 2 shown]
	v_fma_f64 v[50:51], v[152:153], v[146:147], -v[4:5]
	v_fma_f64 v[18:19], v[152:153], v[144:145], v[18:19]
	v_fma_f64 v[28:29], v[148:149], v[142:143], -v[28:29]
	v_fma_f64 v[26:27], v[148:149], v[140:141], v[26:27]
	v_mul_f64 v[38:39], v[106:107], v[116:117]
	v_mul_f64 v[32:33], v[106:107], v[118:119]
	;; [unrolled: 1-line block ×10, first 2 shown]
	v_fma_f64 v[38:39], v[104:105], v[118:119], -v[38:39]
	v_fma_f64 v[32:33], v[104:105], v[116:117], v[32:33]
	v_fma_f64 v[8:9], v[96:97], v[122:123], -v[46:47]
	v_fma_f64 v[4:5], v[96:97], v[120:121], v[40:41]
	v_add_f64 v[40:41], v[6:7], -v[50:51]
	v_fma_f64 v[10:11], v[52:53], v[126:127], -v[54:55]
	v_add_f64 v[46:47], v[6:7], v[50:51]
	v_fma_f64 v[6:7], v[52:53], v[124:125], v[48:49]
	v_fma_f64 v[52:53], v[247:248], v[130:131], -v[58:59]
	v_fma_f64 v[48:49], v[247:248], v[128:129], v[56:57]
	v_fma_f64 v[42:43], v[64:65], v[132:133], v[42:43]
	v_fma_f64 v[44:45], v[64:65], v[134:135], -v[44:45]
	v_fma_f64 v[36:37], v[100:101], v[138:139], -v[36:37]
	v_add_f64 v[54:55], v[16:17], v[18:19]
	v_add_f64 v[16:17], v[16:17], -v[18:19]
	v_add_f64 v[58:59], v[14:15], v[28:29]
	v_add_f64 v[14:15], v[14:15], -v[28:29]
	v_fma_f64 v[34:35], v[100:101], v[136:137], v[34:35]
	v_add_f64 v[56:57], v[12:13], v[26:27]
	v_add_f64 v[12:13], v[12:13], -v[26:27]
	v_add_f64 v[22:23], v[22:23], v[38:39]
	v_add_f64 v[20:21], v[20:21], v[32:33]
	v_mul_f64 v[116:117], v[40:41], s[8:9]
	v_mul_f64 v[120:121], v[40:41], s[18:19]
	;; [unrolled: 1-line block ×8, first 2 shown]
	v_add_f64 v[108:109], v[24:25], v[42:43]
	v_add_f64 v[110:111], v[30:31], v[44:45]
	v_add_f64 v[112:113], v[24:25], -v[42:43]
	v_add_f64 v[114:115], v[30:31], -v[44:45]
	v_mul_f64 v[24:25], v[46:47], s[30:31]
	v_mul_f64 v[30:31], v[40:41], s[34:35]
	;; [unrolled: 1-line block ×4, first 2 shown]
	v_add_f64 v[106:107], v[62:63], v[36:37]
	v_add_f64 v[62:63], v[62:63], -v[36:37]
	v_add_f64 v[22:23], v[22:23], v[8:9]
	v_add_f64 v[20:21], v[20:21], v[4:5]
	v_mul_f64 v[132:133], v[14:15], s[18:19]
	v_mul_f64 v[134:135], v[58:59], s[20:21]
	;; [unrolled: 1-line block ×8, first 2 shown]
	v_fma_f64 v[179:180], v[54:55], s[10:11], v[116:117]
	v_fma_f64 v[181:182], v[16:17], s[2:3], v[118:119]
	v_fma_f64 v[116:117], v[54:55], s[10:11], -v[116:117]
	v_fma_f64 v[118:119], v[16:17], s[8:9], v[118:119]
	v_fma_f64 v[183:184], v[54:55], s[20:21], v[120:121]
	v_fma_f64 v[185:186], v[16:17], s[16:17], v[122:123]
	v_fma_f64 v[120:121], v[54:55], s[20:21], -v[120:121]
	v_fma_f64 v[122:123], v[16:17], s[18:19], v[122:123]
	;; [unrolled: 4-line block ×3, first 2 shown]
	v_add_f64 v[22:23], v[22:23], v[10:11]
	v_add_f64 v[20:21], v[20:21], v[6:7]
	v_fma_f64 v[191:192], v[54:55], s[30:31], v[128:129]
	v_fma_f64 v[128:129], v[54:55], s[30:31], -v[128:129]
	v_fma_f64 v[197:198], v[16:17], s[42:43], v[130:131]
	v_mul_f64 v[146:147], v[58:59], s[40:41]
	v_mul_f64 v[148:149], v[14:15], s[26:27]
	;; [unrolled: 1-line block ×4, first 2 shown]
	v_fma_f64 v[193:194], v[16:17], s[36:37], v[24:25]
	v_fma_f64 v[195:196], v[54:55], s[40:41], v[30:31]
	v_fma_f64 v[30:31], v[54:55], s[40:41], -v[30:31]
	v_fma_f64 v[130:131], v[16:17], s[34:35], v[130:131]
	v_fma_f64 v[199:200], v[54:55], s[44:45], v[40:41]
	;; [unrolled: 1-line block ×3, first 2 shown]
	v_fma_f64 v[40:41], v[54:55], s[44:45], -v[40:41]
	v_add_f64 v[104:105], v[60:61], v[34:35]
	v_add_f64 v[60:61], v[60:61], -v[34:35]
	v_mul_f64 v[152:153], v[62:63], s[22:23]
	v_mul_f64 v[154:155], v[106:107], s[24:25]
	;; [unrolled: 1-line block ×4, first 2 shown]
	v_add_f64 v[22:23], v[22:23], v[52:53]
	v_add_f64 v[20:21], v[20:21], v[48:49]
	v_mul_f64 v[162:163], v[106:107], s[30:31]
	v_mul_f64 v[165:166], v[62:63], s[2:3]
	;; [unrolled: 1-line block ×3, first 2 shown]
	v_fma_f64 v[24:25], v[16:17], s[28:29], v[24:25]
	v_fma_f64 v[16:17], v[16:17], s[38:39], v[46:47]
	;; [unrolled: 1-line block ×4, first 2 shown]
	v_fma_f64 v[132:133], v[56:57], s[20:21], -v[132:133]
	v_fma_f64 v[134:135], v[12:13], s[18:19], v[134:135]
	v_fma_f64 v[203:204], v[56:57], s[30:31], v[136:137]
	;; [unrolled: 1-line block ×3, first 2 shown]
	v_fma_f64 v[136:137], v[56:57], s[30:31], -v[136:137]
	v_fma_f64 v[138:139], v[12:13], s[28:29], v[138:139]
	v_fma_f64 v[207:208], v[56:57], s[44:45], v[140:141]
	;; [unrolled: 1-line block ×3, first 2 shown]
	v_fma_f64 v[140:141], v[56:57], s[44:45], -v[140:141]
	v_fma_f64 v[142:143], v[12:13], s[38:39], v[142:143]
	v_fma_f64 v[211:212], v[56:57], s[40:41], v[144:145]
	v_fma_f64 v[144:145], v[56:57], s[40:41], -v[144:145]
	v_fma_f64 v[217:218], v[12:13], s[22:23], v[150:151]
	v_add_f64 v[22:23], v[22:23], v[44:45]
	v_add_f64 v[20:21], v[20:21], v[42:43]
	;; [unrolled: 1-line block ×15, first 2 shown]
	v_mul_f64 v[156:157], v[62:63], s[38:39]
	v_mul_f64 v[167:168], v[106:107], s[10:11]
	v_mul_f64 v[169:170], v[62:63], s[18:19]
	v_mul_f64 v[62:63], v[62:63], s[34:35]
	v_mul_f64 v[106:107], v[106:107], s[40:41]
	v_fma_f64 v[213:214], v[12:13], s[34:35], v[146:147]
	v_fma_f64 v[219:220], v[56:57], s[10:11], v[14:15]
	v_add_f64 v[22:23], v[22:23], v[36:37]
	v_add_f64 v[20:21], v[20:21], v[34:35]
	v_fma_f64 v[221:222], v[12:13], s[8:9], v[58:59]
	v_fma_f64 v[14:15], v[56:57], s[10:11], -v[14:15]
	v_add_f64 v[183:184], v[0:1], v[183:184]
	v_add_f64 v[187:188], v[0:1], v[187:188]
	;; [unrolled: 1-line block ×9, first 2 shown]
	v_mul_f64 v[173:174], v[114:115], s[28:29]
	v_mul_f64 v[175:176], v[110:111], s[30:31]
	v_fma_f64 v[146:147], v[12:13], s[42:43], v[146:147]
	v_fma_f64 v[215:216], v[56:57], s[24:25], v[148:149]
	v_fma_f64 v[148:149], v[56:57], s[24:25], -v[148:149]
	v_fma_f64 v[150:151], v[12:13], s[26:27], v[150:151]
	v_fma_f64 v[12:13], v[12:13], s[2:3], v[58:59]
	;; [unrolled: 1-line block ×4, first 2 shown]
	v_add_f64 v[22:23], v[22:23], v[28:29]
	v_fma_f64 v[152:153], v[104:105], s[24:25], -v[152:153]
	v_fma_f64 v[225:226], v[60:61], s[46:47], v[158:159]
	v_fma_f64 v[158:159], v[60:61], s[38:39], v[158:159]
	;; [unrolled: 1-line block ×4, first 2 shown]
	v_fma_f64 v[160:161], v[104:105], s[30:31], -v[160:161]
	v_fma_f64 v[162:163], v[60:61], s[36:37], v[162:163]
	v_fma_f64 v[231:232], v[104:105], s[10:11], v[165:166]
	;; [unrolled: 1-line block ×3, first 2 shown]
	v_add_f64 v[24:25], v[2:3], v[24:25]
	v_add_f64 v[2:3], v[2:3], v[16:17]
	;; [unrolled: 1-line block ×16, first 2 shown]
	v_mul_f64 v[177:178], v[114:115], s[42:43]
	v_fma_f64 v[154:155], v[60:61], s[22:23], v[154:155]
	v_fma_f64 v[223:224], v[104:105], s[44:45], v[156:157]
	v_fma_f64 v[156:157], v[104:105], s[44:45], -v[156:157]
	v_fma_f64 v[233:234], v[60:61], s[8:9], v[167:168]
	v_fma_f64 v[42:43], v[104:105], s[40:41], v[62:63]
	;; [unrolled: 1-line block ×3, first 2 shown]
	v_add_f64 v[116:117], v[203:204], v[183:184]
	v_add_f64 v[132:133], v[207:208], v[187:188]
	v_add_f64 v[138:139], v[213:214], v[193:194]
	v_add_f64 v[36:37], v[219:220], v[36:37]
	v_add_f64 v[130:131], v[221:222], v[130:131]
	v_add_f64 v[0:1], v[14:15], v[0:1]
	v_add_f64 v[14:15], v[22:23], v[50:51]
	v_fma_f64 v[22:23], v[104:105], s[40:41], -v[62:63]
	v_fma_f64 v[167:168], v[60:61], s[2:3], v[167:168]
	v_fma_f64 v[171:172], v[60:61], s[18:19], v[171:172]
	v_add_f64 v[2:3], v[12:13], v[2:3]
	v_add_f64 v[16:17], v[56:57], v[16:17]
	;; [unrolled: 1-line block ×11, first 2 shown]
	v_mul_f64 v[62:63], v[110:111], s[40:41]
	v_fma_f64 v[60:61], v[60:61], s[34:35], v[106:107]
	v_fma_f64 v[106:107], v[108:109], s[30:31], v[173:174]
	;; [unrolled: 1-line block ×3, first 2 shown]
	v_add_f64 v[126:127], v[237:238], v[128:129]
	v_fma_f64 v[128:129], v[108:109], s[30:31], -v[173:174]
	v_mul_f64 v[134:135], v[114:115], s[2:3]
	v_mul_f64 v[136:137], v[110:111], s[10:11]
	v_fma_f64 v[165:166], v[104:105], s[10:11], -v[165:166]
	v_fma_f64 v[235:236], v[104:105], s[20:21], v[169:170]
	v_fma_f64 v[169:170], v[104:105], s[20:21], -v[169:170]
	v_add_f64 v[54:55], v[154:155], v[54:55]
	v_add_f64 v[56:57], v[223:224], v[116:117]
	;; [unrolled: 1-line block ×5, first 2 shown]
	v_fma_f64 v[132:133], v[112:113], s[28:29], v[175:176]
	v_add_f64 v[36:37], v[42:43], v[36:37]
	v_add_f64 v[42:43], v[44:45], v[130:131]
	v_fma_f64 v[44:45], v[108:109], s[40:41], v[177:178]
	v_mul_f64 v[130:131], v[114:115], s[22:23]
	v_mul_f64 v[138:139], v[110:111], s[24:25]
	v_add_f64 v[0:1], v[22:23], v[0:1]
	v_add_f64 v[22:23], v[38:39], -v[52:53]
	v_add_f64 v[38:39], v[38:39], v[52:53]
	v_add_f64 v[30:31], v[148:149], v[30:31]
	;; [unrolled: 1-line block ×3, first 2 shown]
	v_fma_f64 v[140:141], v[112:113], s[34:35], v[62:63]
	v_add_f64 v[2:3], v[60:61], v[2:3]
	v_add_f64 v[16:17], v[106:107], v[16:17]
	;; [unrolled: 1-line block ×3, first 2 shown]
	v_mul_f64 v[52:53], v[114:115], s[46:47]
	v_fma_f64 v[60:61], v[108:109], s[40:41], -v[177:178]
	v_fma_f64 v[62:63], v[112:113], s[42:43], v[62:63]
	v_mul_f64 v[106:107], v[110:111], s[44:45]
	v_add_f64 v[46:47], v[128:129], v[46:47]
	v_fma_f64 v[124:125], v[108:109], s[10:11], v[134:135]
	v_fma_f64 v[128:129], v[112:113], s[8:9], v[136:137]
	v_mul_f64 v[114:115], v[114:115], s[16:17]
	v_add_f64 v[54:55], v[132:133], v[54:55]
	v_fma_f64 v[132:133], v[108:109], s[10:11], -v[134:135]
	v_fma_f64 v[134:135], v[112:113], s[2:3], v[136:137]
	v_mul_f64 v[110:111], v[110:111], s[20:21]
	v_add_f64 v[44:45], v[44:45], v[56:57]
	v_fma_f64 v[56:57], v[108:109], s[24:25], v[130:131]
	v_fma_f64 v[136:137], v[112:113], s[26:27], v[138:139]
	v_add_f64 v[142:143], v[32:33], v[48:49]
	v_mul_f64 v[144:145], v[22:23], s[34:35]
	v_add_f64 v[32:33], v[32:33], -v[48:49]
	v_mul_f64 v[48:49], v[38:39], s[40:41]
	v_add_f64 v[24:25], v[146:147], v[24:25]
	v_add_f64 v[26:27], v[165:166], v[26:27]
	v_add_f64 v[30:31], v[169:170], v[30:31]
	v_add_f64 v[34:35], v[171:172], v[34:35]
	v_add_f64 v[58:59], v[140:141], v[58:59]
	v_fma_f64 v[130:131], v[108:109], s[24:25], -v[130:131]
	v_fma_f64 v[140:141], v[108:109], s[44:45], v[52:53]
	v_add_f64 v[60:61], v[60:61], v[116:117]
	v_add_f64 v[62:63], v[62:63], v[118:119]
	v_fma_f64 v[116:117], v[112:113], s[38:39], v[106:107]
	v_fma_f64 v[52:53], v[108:109], s[44:45], -v[52:53]
	v_fma_f64 v[106:107], v[112:113], s[46:47], v[106:107]
	v_add_f64 v[118:119], v[124:125], v[120:121]
	v_add_f64 v[120:121], v[128:129], v[122:123]
	v_fma_f64 v[122:123], v[108:109], s[20:21], v[114:115]
	v_fma_f64 v[108:109], v[108:109], s[20:21], -v[114:115]
	v_add_f64 v[28:29], v[215:216], v[195:196]
	v_fma_f64 v[138:139], v[112:113], s[22:23], v[138:139]
	v_fma_f64 v[124:125], v[112:113], s[18:19], v[110:111]
	;; [unrolled: 1-line block ×3, first 2 shown]
	v_add_f64 v[50:51], v[56:57], v[50:51]
	v_add_f64 v[56:57], v[136:137], v[104:105]
	v_fma_f64 v[104:105], v[142:143], s[40:41], v[144:145]
	v_mul_f64 v[112:113], v[22:23], s[26:27]
	v_mul_f64 v[114:115], v[38:39], s[24:25]
	v_fma_f64 v[128:129], v[32:33], s[42:43], v[48:49]
	v_add_f64 v[18:19], v[132:133], v[18:19]
	v_mul_f64 v[132:133], v[38:39], s[20:21]
	v_add_f64 v[24:25], v[167:168], v[24:25]
	v_add_f64 v[26:27], v[130:131], v[26:27]
	v_mul_f64 v[130:131], v[22:23], s[18:19]
	v_add_f64 v[116:117], v[116:117], v[126:127]
	v_add_f64 v[30:31], v[52:53], v[30:31]
	;; [unrolled: 1-line block ×3, first 2 shown]
	v_fma_f64 v[52:53], v[142:143], s[40:41], -v[144:145]
	v_mul_f64 v[106:107], v[22:23], s[46:47]
	v_mul_f64 v[126:127], v[38:39], s[44:45]
	v_fma_f64 v[48:49], v[32:33], s[34:35], v[48:49]
	v_add_f64 v[0:1], v[108:109], v[0:1]
	v_add_f64 v[108:109], v[8:9], -v[10:11]
	v_add_f64 v[28:29], v[235:236], v[28:29]
	v_add_f64 v[2:3], v[110:111], v[2:3]
	;; [unrolled: 1-line block ×5, first 2 shown]
	v_fma_f64 v[16:17], v[142:143], s[24:25], v[112:113]
	v_fma_f64 v[104:105], v[32:33], s[22:23], v[114:115]
	v_fma_f64 v[110:111], v[142:143], s[24:25], -v[112:113]
	v_fma_f64 v[112:113], v[32:33], s[26:27], v[114:115]
	v_mul_f64 v[114:115], v[22:23], s[2:3]
	v_add_f64 v[40:41], v[128:129], v[40:41]
	v_mul_f64 v[128:129], v[38:39], s[10:11]
	v_add_f64 v[42:43], v[124:125], v[42:43]
	v_fma_f64 v[124:125], v[32:33], s[16:17], v[132:133]
	v_fma_f64 v[132:133], v[32:33], s[18:19], v[132:133]
	v_add_f64 v[24:25], v[138:139], v[24:25]
	v_add_f64 v[36:37], v[122:123], v[36:37]
	v_fma_f64 v[122:123], v[142:143], s[20:21], v[130:131]
	v_add_f64 v[46:47], v[52:53], v[46:47]
	v_fma_f64 v[52:53], v[142:143], s[44:45], v[106:107]
	v_fma_f64 v[134:135], v[32:33], s[38:39], v[126:127]
	v_add_f64 v[54:55], v[48:49], v[54:55]
	v_mul_f64 v[22:23], v[22:23], s[28:29]
	v_mul_f64 v[38:39], v[38:39], s[30:31]
	v_add_f64 v[48:49], v[4:5], v[6:7]
	v_mul_f64 v[138:139], v[108:109], s[38:39]
	v_add_f64 v[136:137], v[4:5], -v[6:7]
	v_fma_f64 v[6:7], v[32:33], s[46:47], v[126:127]
	v_add_f64 v[28:29], v[140:141], v[28:29]
	v_fma_f64 v[130:131], v[142:143], s[20:21], -v[130:131]
	v_mul_f64 v[140:141], v[8:9], s[44:45]
	v_add_f64 v[16:17], v[16:17], v[44:45]
	v_add_f64 v[44:45], v[104:105], v[58:59]
	v_add_f64 v[58:59], v[110:111], v[60:61]
	v_add_f64 v[60:61], v[112:113], v[62:63]
	v_fma_f64 v[62:63], v[142:143], s[10:11], v[114:115]
	v_fma_f64 v[110:111], v[32:33], s[8:9], v[128:129]
	v_add_f64 v[112:113], v[132:133], v[20:21]
	v_fma_f64 v[20:21], v[142:143], s[10:11], -v[114:115]
	v_fma_f64 v[4:5], v[142:143], s[44:45], -v[106:107]
	v_add_f64 v[104:105], v[122:123], v[118:119]
	v_add_f64 v[106:107], v[124:125], v[120:121]
	;; [unrolled: 1-line block ×4, first 2 shown]
	v_fma_f64 v[56:57], v[32:33], s[2:3], v[128:129]
	v_fma_f64 v[114:115], v[142:143], s[30:31], v[22:23]
	;; [unrolled: 1-line block ×3, first 2 shown]
	v_fma_f64 v[22:23], v[142:143], s[30:31], -v[22:23]
	v_fma_f64 v[32:33], v[32:33], s[28:29], v[38:39]
	v_fma_f64 v[38:39], v[48:49], s[44:45], v[138:139]
	v_mul_f64 v[122:123], v[108:109], s[2:3]
	v_mul_f64 v[124:125], v[8:9], s[10:11]
	v_add_f64 v[126:127], v[6:7], v[24:25]
	v_mul_f64 v[24:25], v[108:109], s[34:35]
	v_mul_f64 v[128:129], v[8:9], s[40:41]
	v_add_f64 v[18:19], v[130:131], v[18:19]
	v_fma_f64 v[120:121], v[136:137], s[46:47], v[140:141]
	v_add_f64 v[62:63], v[62:63], v[28:29]
	v_mul_f64 v[28:29], v[108:109], s[16:17]
	v_mul_f64 v[130:131], v[8:9], s[20:21]
	v_add_f64 v[110:111], v[110:111], v[116:117]
	v_mul_f64 v[116:117], v[108:109], s[28:29]
	v_mul_f64 v[132:133], v[8:9], s[30:31]
	;; [unrolled: 3-line block ×3, first 2 shown]
	v_add_f64 v[26:27], v[4:5], v[26:27]
	v_add_f64 v[34:35], v[56:57], v[34:35]
	;; [unrolled: 1-line block ×6, first 2 shown]
	v_fma_f64 v[10:11], v[48:49], s[10:11], v[122:123]
	v_fma_f64 v[22:23], v[136:137], s[8:9], v[124:125]
	v_fma_f64 v[30:31], v[48:49], s[10:11], -v[122:123]
	v_fma_f64 v[32:33], v[48:49], s[40:41], v[24:25]
	v_fma_f64 v[36:37], v[136:137], s[42:43], v[128:129]
	v_add_f64 v[42:43], v[118:119], v[42:43]
	v_add_f64 v[6:7], v[120:121], v[40:41]
	v_fma_f64 v[0:1], v[48:49], s[44:45], -v[138:139]
	v_fma_f64 v[38:39], v[48:49], s[20:21], v[28:29]
	v_fma_f64 v[40:41], v[136:137], s[18:19], v[130:131]
	v_fma_f64 v[24:25], v[48:49], s[40:41], -v[24:25]
	v_fma_f64 v[118:119], v[48:49], s[30:31], v[116:117]
	v_fma_f64 v[120:121], v[136:137], s[36:37], v[132:133]
	;; [unrolled: 3-line block ×3, first 2 shown]
	v_fma_f64 v[116:117], v[48:49], s[30:31], -v[116:117]
	v_fma_f64 v[48:49], v[48:49], s[24:25], -v[20:21]
	v_fma_f64 v[142:143], v[136:137], s[26:27], v[8:9]
	v_fma_f64 v[132:133], v[136:137], s[28:29], v[132:133]
	;; [unrolled: 1-line block ×6, first 2 shown]
	v_add_f64 v[8:9], v[10:11], v[16:17]
	v_add_f64 v[10:11], v[22:23], v[44:45]
	;; [unrolled: 1-line block ×22, first 2 shown]
	ds_write_b128 v164, v[12:15]
	ds_write_b128 v164, v[4:7] offset:272
	ds_write_b128 v164, v[8:11] offset:544
	;; [unrolled: 1-line block ×12, first 2 shown]
	s_waitcnt lgkmcnt(0)
	s_barrier
	buffer_gl0_inv
	ds_read_b128 v[12:15], v255
	ds_read_b128 v[8:11], v255 offset:816
	ds_read_b128 v[40:43], v255 offset:3536
	ds_read_b128 v[20:23], v255 offset:4352
	ds_read_b128 v[44:47], v255 offset:7072
	ds_read_b128 v[28:31], v255 offset:7888
	ds_read_b128 v[16:19], v255 offset:1632
	ds_read_b128 v[4:7], v255 offset:2448
	ds_read_b128 v[36:39], v255 offset:5168
	ds_read_b128 v[24:27], v255 offset:5984
	ds_read_b128 v[48:51], v255 offset:8704
	ds_read_b128 v[32:35], v255 offset:9520
	s_and_saveexec_b32 s1, s0
	s_cbranch_execz .LBB0_19
; %bb.18:
	ds_read_b128 v[0:3], v255 offset:3264
	ds_read_b128 v[52:55], v255 offset:6800
	s_waitcnt lgkmcnt(0)
	buffer_store_dword v52, off, s[60:63], 0 offset:28 ; 4-byte Folded Spill
	buffer_store_dword v53, off, s[60:63], 0 offset:32 ; 4-byte Folded Spill
	buffer_store_dword v54, off, s[60:63], 0 offset:36 ; 4-byte Folded Spill
	buffer_store_dword v55, off, s[60:63], 0 offset:40 ; 4-byte Folded Spill
	ds_read_b128 v[52:55], v255 offset:10336
	s_waitcnt lgkmcnt(0)
	buffer_store_dword v52, off, s[60:63], 0 offset:12 ; 4-byte Folded Spill
	buffer_store_dword v53, off, s[60:63], 0 offset:16 ; 4-byte Folded Spill
	;; [unrolled: 1-line block ×4, first 2 shown]
.LBB0_19:
	s_or_b32 exec_lo, exec_lo, s1
	s_clause 0x17
	buffer_load_dword v80, off, s[60:63], 0 offset:220
	buffer_load_dword v81, off, s[60:63], 0 offset:224
	;; [unrolled: 1-line block ×24, first 2 shown]
	s_waitcnt lgkmcnt(2)
	v_mul_f64 v[104:105], v[90:91], v[26:27]
	s_waitcnt lgkmcnt(0)
	v_mul_f64 v[106:107], v[94:95], v[34:35]
	v_mul_f64 v[90:91], v[90:91], v[24:25]
	;; [unrolled: 1-line block ×3, first 2 shown]
	s_mov_b32 s2, 0xe8584caa
	s_mov_b32 s3, 0xbfebb67a
	s_mov_b32 s9, 0x3febb67a
	s_mov_b32 s8, s2
	v_fma_f64 v[24:25], v[88:89], v[24:25], v[104:105]
	v_fma_f64 v[32:33], v[92:93], v[32:33], v[106:107]
	v_fma_f64 v[26:27], v[88:89], v[26:27], -v[90:91]
	v_fma_f64 v[34:35], v[92:93], v[34:35], -v[94:95]
	v_add_f64 v[92:93], v[24:25], -v[32:33]
	v_add_f64 v[90:91], v[26:27], -v[34:35]
	s_waitcnt vmcnt(20)
	v_mul_f64 v[52:53], v[82:83], v[42:43]
	v_mul_f64 v[54:55], v[82:83], v[40:41]
	s_waitcnt vmcnt(16)
	v_mul_f64 v[56:57], v[78:79], v[46:47]
	v_mul_f64 v[58:59], v[78:79], v[44:45]
	s_waitcnt vmcnt(12)
	v_mul_f64 v[60:61], v[66:67], v[22:23]
	s_waitcnt vmcnt(8)
	v_mul_f64 v[62:63], v[70:71], v[30:31]
	v_mul_f64 v[66:67], v[66:67], v[20:21]
	;; [unrolled: 1-line block ×3, first 2 shown]
	s_waitcnt vmcnt(4)
	v_mul_f64 v[78:79], v[74:75], v[38:39]
	s_waitcnt vmcnt(0)
	v_mul_f64 v[82:83], v[86:87], v[50:51]
	v_mul_f64 v[74:75], v[74:75], v[36:37]
	;; [unrolled: 1-line block ×3, first 2 shown]
	v_fma_f64 v[40:41], v[80:81], v[40:41], v[52:53]
	v_fma_f64 v[42:43], v[80:81], v[42:43], -v[54:55]
	v_fma_f64 v[44:45], v[76:77], v[44:45], v[56:57]
	v_fma_f64 v[46:47], v[76:77], v[46:47], -v[58:59]
	v_fma_f64 v[20:21], v[64:65], v[20:21], v[60:61]
	v_fma_f64 v[28:29], v[68:69], v[28:29], v[62:63]
	v_fma_f64 v[22:23], v[64:65], v[22:23], -v[66:67]
	v_fma_f64 v[30:31], v[68:69], v[30:31], -v[70:71]
	v_fma_f64 v[36:37], v[72:73], v[36:37], v[78:79]
	v_fma_f64 v[48:49], v[84:85], v[48:49], v[82:83]
	v_fma_f64 v[38:39], v[72:73], v[38:39], -v[74:75]
	v_fma_f64 v[50:51], v[84:85], v[50:51], -v[86:87]
	v_add_f64 v[68:69], v[24:25], v[32:33]
	v_add_f64 v[70:71], v[26:27], v[34:35]
	v_add_f64 v[80:81], v[4:5], v[24:25]
	v_add_f64 v[82:83], v[6:7], v[26:27]
	v_add_f64 v[62:63], v[12:13], v[40:41]
	v_add_f64 v[52:53], v[40:41], v[44:45]
	v_add_f64 v[54:55], v[42:43], v[46:47]
	v_add_f64 v[66:67], v[42:43], -v[46:47]
	v_add_f64 v[56:57], v[20:21], v[28:29]
	v_add_f64 v[42:43], v[14:15], v[42:43]
	;; [unrolled: 1-line block ×9, first 2 shown]
	v_add_f64 v[40:41], v[40:41], -v[44:45]
	v_add_f64 v[84:85], v[22:23], -v[30:31]
	;; [unrolled: 1-line block ×5, first 2 shown]
	v_fma_f64 v[68:69], v[68:69], -0.5, v[4:5]
	v_add_f64 v[4:5], v[62:63], v[44:45]
	v_fma_f64 v[62:63], v[70:71], -0.5, v[6:7]
	v_fma_f64 v[52:53], v[52:53], -0.5, v[12:13]
	;; [unrolled: 1-line block ×4, first 2 shown]
	v_add_f64 v[6:7], v[42:43], v[46:47]
	v_fma_f64 v[58:59], v[58:59], -0.5, v[10:11]
	v_add_f64 v[8:9], v[72:73], v[28:29]
	v_fma_f64 v[60:61], v[60:61], -0.5, v[16:17]
	v_add_f64 v[10:11], v[74:75], v[30:31]
	v_fma_f64 v[64:65], v[64:65], -0.5, v[18:19]
	v_add_f64 v[12:13], v[76:77], v[48:49]
	v_add_f64 v[14:15], v[78:79], v[50:51]
	;; [unrolled: 1-line block ×4, first 2 shown]
	v_fma_f64 v[44:45], v[90:91], s[2:3], v[68:69]
	v_fma_f64 v[48:49], v[90:91], s[8:9], v[68:69]
	;; [unrolled: 1-line block ×16, first 2 shown]
	ds_write_b128 v255, v[4:7]
	ds_write_b128 v255, v[8:11] offset:816
	ds_write_b128 v255, v[12:15] offset:1632
	;; [unrolled: 1-line block ×11, first 2 shown]
	s_and_saveexec_b32 s1, s0
	s_cbranch_execz .LBB0_21
; %bb.20:
	s_clause 0xf
	buffer_load_dword v12, off, s[60:63], 0 offset:252
	buffer_load_dword v13, off, s[60:63], 0 offset:256
	;; [unrolled: 1-line block ×16, first 2 shown]
	s_waitcnt vmcnt(10)
	v_mul_f64 v[4:5], v[14:15], v[24:25]
	s_waitcnt vmcnt(2)
	v_mul_f64 v[6:7], v[18:19], v[20:21]
	v_mul_f64 v[8:9], v[14:15], v[26:27]
	s_waitcnt vmcnt(0)
	v_mul_f64 v[10:11], v[18:19], v[22:23]
	v_fma_f64 v[4:5], v[12:13], v[26:27], -v[4:5]
	v_fma_f64 v[6:7], v[16:17], v[22:23], -v[6:7]
	v_fma_f64 v[8:9], v[12:13], v[24:25], v[8:9]
	v_fma_f64 v[10:11], v[16:17], v[20:21], v[10:11]
	v_add_f64 v[18:19], v[2:3], v[4:5]
	v_add_f64 v[12:13], v[4:5], v[6:7]
	v_add_f64 v[4:5], v[4:5], -v[6:7]
	v_add_f64 v[14:15], v[8:9], v[10:11]
	v_add_f64 v[16:17], v[8:9], -v[10:11]
	v_add_f64 v[8:9], v[0:1], v[8:9]
	v_fma_f64 v[12:13], v[12:13], -0.5, v[2:3]
	v_add_f64 v[2:3], v[18:19], v[6:7]
	v_fma_f64 v[14:15], v[14:15], -0.5, v[0:1]
	v_add_f64 v[0:1], v[8:9], v[10:11]
	v_fma_f64 v[10:11], v[16:17], s[8:9], v[12:13]
	v_fma_f64 v[6:7], v[16:17], s[2:3], v[12:13]
	;; [unrolled: 1-line block ×4, first 2 shown]
	ds_write_b128 v255, v[0:3] offset:3264
	ds_write_b128 v255, v[8:11] offset:6800
	;; [unrolled: 1-line block ×3, first 2 shown]
.LBB0_21:
	s_or_b32 exec_lo, exec_lo, s1
	s_waitcnt lgkmcnt(0)
	s_waitcnt_vscnt null, 0x0
	s_barrier
	buffer_gl0_inv
	s_and_b32 exec_lo, exec_lo, vcc_lo
	s_cbranch_execz .LBB0_23
; %bb.22:
	global_load_dwordx4 v[0:3], v255, s[12:13]
	ds_read_b128 v[4:7], v255
	ds_read_b128 v[8:11], v255 offset:624
	ds_read_b128 v[12:15], v255 offset:9984
	s_clause 0x2
	buffer_load_dword v18, off, s[60:63], 0 offset:4
	buffer_load_dword v19, off, s[60:63], 0 offset:8
	buffer_load_dword v21, off, s[60:63], 0
	s_mov_b32 s0, 0x18b64019
	s_mov_b32 s1, 0x3f58b640
	s_mul_i32 s2, s5, 0x270
	s_mul_hi_u32 s3, s4, 0x270
	s_add_i32 s3, s3, s2
	v_add_co_u32 v22, s2, s12, v255
	v_add_co_ci_u32_e64 v23, null, s13, 0, s2
	s_waitcnt vmcnt(3) lgkmcnt(2)
	v_mul_f64 v[16:17], v[6:7], v[2:3]
	v_mul_f64 v[2:3], v[4:5], v[2:3]
	s_waitcnt vmcnt(2)
	v_mov_b32_e32 v20, v18
	s_waitcnt vmcnt(1)
	v_mad_u64_u32 v[18:19], null, s6, v20, 0
	v_fma_f64 v[4:5], v[4:5], v[0:1], v[16:17]
	v_fma_f64 v[2:3], v[0:1], v[6:7], -v[2:3]
	s_waitcnt vmcnt(0)
	v_mad_u64_u32 v[6:7], null, s4, v21, 0
	v_mov_b32_e32 v0, v19
	s_mulk_i32 s4, 0x270
	v_mov_b32_e32 v1, v7
	v_mad_u64_u32 v[16:17], null, s7, v20, v[0:1]
	v_mov_b32_e32 v19, v16
	v_mad_u64_u32 v[20:21], null, s5, v21, v[1:2]
	v_mul_f64 v[0:1], v[4:5], s[0:1]
	v_mul_f64 v[2:3], v[2:3], s[0:1]
	v_lshlrev_b64 v[4:5], 4, v[18:19]
	v_mov_b32_e32 v7, v20
	v_add_co_u32 v4, vcc_lo, s14, v4
	v_add_co_ci_u32_e32 v5, vcc_lo, s15, v5, vcc_lo
	v_lshlrev_b64 v[6:7], 4, v[6:7]
	v_add_co_u32 v4, vcc_lo, v4, v6
	v_add_co_ci_u32_e32 v5, vcc_lo, v5, v7, vcc_lo
	v_add_co_u32 v16, vcc_lo, v4, s4
	global_store_dwordx4 v[4:5], v[0:3], off
	global_load_dwordx4 v[0:3], v255, s[12:13] offset:624
	v_add_co_ci_u32_e32 v17, vcc_lo, s3, v5, vcc_lo
	s_waitcnt vmcnt(0) lgkmcnt(1)
	v_mul_f64 v[6:7], v[10:11], v[2:3]
	v_mul_f64 v[2:3], v[8:9], v[2:3]
	v_fma_f64 v[6:7], v[8:9], v[0:1], v[6:7]
	v_fma_f64 v[2:3], v[0:1], v[10:11], -v[2:3]
	v_mul_f64 v[0:1], v[6:7], s[0:1]
	v_mul_f64 v[2:3], v[2:3], s[0:1]
	global_store_dwordx4 v[16:17], v[0:3], off
	global_load_dwordx4 v[0:3], v255, s[12:13] offset:1248
	ds_read_b128 v[4:7], v255 offset:1248
	ds_read_b128 v[8:11], v255 offset:1872
	s_waitcnt vmcnt(0) lgkmcnt(1)
	v_mul_f64 v[18:19], v[6:7], v[2:3]
	v_mul_f64 v[2:3], v[4:5], v[2:3]
	v_fma_f64 v[4:5], v[4:5], v[0:1], v[18:19]
	v_fma_f64 v[2:3], v[0:1], v[6:7], -v[2:3]
	v_mul_f64 v[0:1], v[4:5], s[0:1]
	v_mul_f64 v[2:3], v[2:3], s[0:1]
	v_add_co_u32 v4, vcc_lo, v16, s4
	v_add_co_ci_u32_e32 v5, vcc_lo, s3, v17, vcc_lo
	v_add_co_u32 v16, vcc_lo, v4, s4
	v_add_co_ci_u32_e32 v17, vcc_lo, s3, v5, vcc_lo
	v_add_co_u32 v18, vcc_lo, 0x800, v22
	v_add_co_ci_u32_e32 v19, vcc_lo, 0, v23, vcc_lo
	global_store_dwordx4 v[4:5], v[0:3], off
	global_load_dwordx4 v[0:3], v255, s[12:13] offset:1872
	s_waitcnt vmcnt(0) lgkmcnt(0)
	v_mul_f64 v[6:7], v[10:11], v[2:3]
	v_mul_f64 v[2:3], v[8:9], v[2:3]
	v_fma_f64 v[6:7], v[8:9], v[0:1], v[6:7]
	v_fma_f64 v[2:3], v[0:1], v[10:11], -v[2:3]
	v_mul_f64 v[0:1], v[6:7], s[0:1]
	v_mul_f64 v[2:3], v[2:3], s[0:1]
	global_store_dwordx4 v[16:17], v[0:3], off
	global_load_dwordx4 v[0:3], v[18:19], off offset:448
	ds_read_b128 v[4:7], v255 offset:2496
	ds_read_b128 v[8:11], v255 offset:3120
	s_waitcnt vmcnt(0) lgkmcnt(1)
	v_mul_f64 v[20:21], v[6:7], v[2:3]
	v_mul_f64 v[2:3], v[4:5], v[2:3]
	v_fma_f64 v[4:5], v[4:5], v[0:1], v[20:21]
	v_fma_f64 v[2:3], v[0:1], v[6:7], -v[2:3]
	v_mul_f64 v[0:1], v[4:5], s[0:1]
	v_mul_f64 v[2:3], v[2:3], s[0:1]
	v_add_co_u32 v4, vcc_lo, v16, s4
	v_add_co_ci_u32_e32 v5, vcc_lo, s3, v17, vcc_lo
	v_add_co_u32 v16, vcc_lo, v4, s4
	v_add_co_ci_u32_e32 v17, vcc_lo, s3, v5, vcc_lo
	global_store_dwordx4 v[4:5], v[0:3], off
	global_load_dwordx4 v[0:3], v[18:19], off offset:1072
	s_waitcnt vmcnt(0) lgkmcnt(0)
	v_mul_f64 v[6:7], v[10:11], v[2:3]
	v_mul_f64 v[2:3], v[8:9], v[2:3]
	v_fma_f64 v[6:7], v[8:9], v[0:1], v[6:7]
	v_fma_f64 v[2:3], v[0:1], v[10:11], -v[2:3]
	v_mul_f64 v[0:1], v[6:7], s[0:1]
	v_mul_f64 v[2:3], v[2:3], s[0:1]
	global_store_dwordx4 v[16:17], v[0:3], off
	global_load_dwordx4 v[0:3], v[18:19], off offset:1696
	ds_read_b128 v[4:7], v255 offset:3744
	ds_read_b128 v[8:11], v255 offset:4368
	s_waitcnt vmcnt(0) lgkmcnt(1)
	v_mul_f64 v[18:19], v[6:7], v[2:3]
	v_mul_f64 v[2:3], v[4:5], v[2:3]
	v_fma_f64 v[4:5], v[4:5], v[0:1], v[18:19]
	v_fma_f64 v[2:3], v[0:1], v[6:7], -v[2:3]
	v_mul_f64 v[0:1], v[4:5], s[0:1]
	v_mul_f64 v[2:3], v[2:3], s[0:1]
	v_add_co_u32 v4, vcc_lo, v16, s4
	v_add_co_ci_u32_e32 v5, vcc_lo, s3, v17, vcc_lo
	v_add_co_u32 v16, vcc_lo, 0x1000, v22
	v_add_co_ci_u32_e32 v17, vcc_lo, 0, v23, vcc_lo
	;; [unrolled: 2-line block ×3, first 2 shown]
	global_store_dwordx4 v[4:5], v[0:3], off
	global_load_dwordx4 v[0:3], v[16:17], off offset:272
	s_waitcnt vmcnt(0) lgkmcnt(0)
	v_mul_f64 v[6:7], v[10:11], v[2:3]
	v_mul_f64 v[2:3], v[8:9], v[2:3]
	v_fma_f64 v[6:7], v[8:9], v[0:1], v[6:7]
	v_fma_f64 v[2:3], v[0:1], v[10:11], -v[2:3]
	v_mul_f64 v[0:1], v[6:7], s[0:1]
	v_mul_f64 v[2:3], v[2:3], s[0:1]
	global_store_dwordx4 v[18:19], v[0:3], off
	global_load_dwordx4 v[0:3], v[16:17], off offset:896
	ds_read_b128 v[4:7], v255 offset:4992
	ds_read_b128 v[8:11], v255 offset:5616
	s_waitcnt vmcnt(0) lgkmcnt(1)
	v_mul_f64 v[20:21], v[6:7], v[2:3]
	v_mul_f64 v[2:3], v[4:5], v[2:3]
	v_fma_f64 v[4:5], v[4:5], v[0:1], v[20:21]
	v_fma_f64 v[2:3], v[0:1], v[6:7], -v[2:3]
	v_mul_f64 v[0:1], v[4:5], s[0:1]
	v_mul_f64 v[2:3], v[2:3], s[0:1]
	v_add_co_u32 v4, vcc_lo, v18, s4
	v_add_co_ci_u32_e32 v5, vcc_lo, s3, v19, vcc_lo
	global_store_dwordx4 v[4:5], v[0:3], off
	global_load_dwordx4 v[0:3], v[16:17], off offset:1520
	v_add_co_u32 v16, vcc_lo, v4, s4
	v_add_co_ci_u32_e32 v17, vcc_lo, s3, v5, vcc_lo
	v_add_co_u32 v18, vcc_lo, 0x1800, v22
	v_add_co_ci_u32_e32 v19, vcc_lo, 0, v23, vcc_lo
	s_waitcnt vmcnt(0) lgkmcnt(0)
	v_mul_f64 v[6:7], v[10:11], v[2:3]
	v_mul_f64 v[2:3], v[8:9], v[2:3]
	v_fma_f64 v[6:7], v[8:9], v[0:1], v[6:7]
	v_fma_f64 v[2:3], v[0:1], v[10:11], -v[2:3]
	v_mul_f64 v[0:1], v[6:7], s[0:1]
	v_mul_f64 v[2:3], v[2:3], s[0:1]
	global_store_dwordx4 v[16:17], v[0:3], off
	global_load_dwordx4 v[0:3], v[18:19], off offset:96
	ds_read_b128 v[4:7], v255 offset:6240
	ds_read_b128 v[8:11], v255 offset:6864
	s_waitcnt vmcnt(0) lgkmcnt(1)
	v_mul_f64 v[20:21], v[6:7], v[2:3]
	v_mul_f64 v[2:3], v[4:5], v[2:3]
	v_fma_f64 v[4:5], v[4:5], v[0:1], v[20:21]
	v_fma_f64 v[2:3], v[0:1], v[6:7], -v[2:3]
	v_mul_f64 v[0:1], v[4:5], s[0:1]
	v_mul_f64 v[2:3], v[2:3], s[0:1]
	v_add_co_u32 v4, vcc_lo, v16, s4
	v_add_co_ci_u32_e32 v5, vcc_lo, s3, v17, vcc_lo
	v_add_co_u32 v16, vcc_lo, v4, s4
	v_add_co_ci_u32_e32 v17, vcc_lo, s3, v5, vcc_lo
	global_store_dwordx4 v[4:5], v[0:3], off
	global_load_dwordx4 v[0:3], v[18:19], off offset:720
	s_waitcnt vmcnt(0) lgkmcnt(0)
	v_mul_f64 v[6:7], v[10:11], v[2:3]
	v_mul_f64 v[2:3], v[8:9], v[2:3]
	v_fma_f64 v[6:7], v[8:9], v[0:1], v[6:7]
	v_fma_f64 v[2:3], v[0:1], v[10:11], -v[2:3]
	v_mul_f64 v[0:1], v[6:7], s[0:1]
	v_mul_f64 v[2:3], v[2:3], s[0:1]
	global_store_dwordx4 v[16:17], v[0:3], off
	global_load_dwordx4 v[0:3], v[18:19], off offset:1344
	ds_read_b128 v[4:7], v255 offset:7488
	ds_read_b128 v[8:11], v255 offset:8112
	s_waitcnt vmcnt(0) lgkmcnt(1)
	v_mul_f64 v[20:21], v[6:7], v[2:3]
	v_mul_f64 v[2:3], v[4:5], v[2:3]
	v_fma_f64 v[4:5], v[4:5], v[0:1], v[20:21]
	v_fma_f64 v[2:3], v[0:1], v[6:7], -v[2:3]
	v_mul_f64 v[0:1], v[4:5], s[0:1]
	v_mul_f64 v[2:3], v[2:3], s[0:1]
	v_add_co_u32 v4, vcc_lo, v16, s4
	v_add_co_ci_u32_e32 v5, vcc_lo, s3, v17, vcc_lo
	v_add_co_u32 v16, vcc_lo, v4, s4
	v_add_co_ci_u32_e32 v17, vcc_lo, s3, v5, vcc_lo
	global_store_dwordx4 v[4:5], v[0:3], off
	global_load_dwordx4 v[0:3], v[18:19], off offset:1968
	v_add_co_u32 v18, vcc_lo, 0x2000, v22
	v_add_co_ci_u32_e32 v19, vcc_lo, 0, v23, vcc_lo
	s_waitcnt vmcnt(0) lgkmcnt(0)
	v_mul_f64 v[6:7], v[10:11], v[2:3]
	v_mul_f64 v[2:3], v[8:9], v[2:3]
	v_fma_f64 v[6:7], v[8:9], v[0:1], v[6:7]
	v_fma_f64 v[2:3], v[0:1], v[10:11], -v[2:3]
	v_mul_f64 v[0:1], v[6:7], s[0:1]
	v_mul_f64 v[2:3], v[2:3], s[0:1]
	global_store_dwordx4 v[16:17], v[0:3], off
	global_load_dwordx4 v[0:3], v[18:19], off offset:544
	ds_read_b128 v[4:7], v255 offset:8736
	ds_read_b128 v[8:11], v255 offset:9360
	s_waitcnt vmcnt(0) lgkmcnt(1)
	v_mul_f64 v[20:21], v[6:7], v[2:3]
	v_mul_f64 v[2:3], v[4:5], v[2:3]
	v_fma_f64 v[4:5], v[4:5], v[0:1], v[20:21]
	v_fma_f64 v[2:3], v[0:1], v[6:7], -v[2:3]
	v_mul_f64 v[0:1], v[4:5], s[0:1]
	v_mul_f64 v[2:3], v[2:3], s[0:1]
	v_add_co_u32 v4, vcc_lo, v16, s4
	v_add_co_ci_u32_e32 v5, vcc_lo, s3, v17, vcc_lo
	global_store_dwordx4 v[4:5], v[0:3], off
	global_load_dwordx4 v[0:3], v[18:19], off offset:1168
	v_add_co_u32 v4, vcc_lo, v4, s4
	v_add_co_ci_u32_e32 v5, vcc_lo, s3, v5, vcc_lo
	s_waitcnt vmcnt(0) lgkmcnt(0)
	v_mul_f64 v[6:7], v[10:11], v[2:3]
	v_mul_f64 v[2:3], v[8:9], v[2:3]
	v_fma_f64 v[6:7], v[8:9], v[0:1], v[6:7]
	v_fma_f64 v[2:3], v[0:1], v[10:11], -v[2:3]
	v_mul_f64 v[0:1], v[6:7], s[0:1]
	v_mul_f64 v[2:3], v[2:3], s[0:1]
	global_store_dwordx4 v[4:5], v[0:3], off
	global_load_dwordx4 v[0:3], v[18:19], off offset:1792
	v_add_co_u32 v4, vcc_lo, v4, s4
	v_add_co_ci_u32_e32 v5, vcc_lo, s3, v5, vcc_lo
	s_waitcnt vmcnt(0)
	v_mul_f64 v[6:7], v[14:15], v[2:3]
	v_mul_f64 v[2:3], v[12:13], v[2:3]
	v_fma_f64 v[6:7], v[12:13], v[0:1], v[6:7]
	v_fma_f64 v[2:3], v[0:1], v[14:15], -v[2:3]
	v_mul_f64 v[0:1], v[6:7], s[0:1]
	v_mul_f64 v[2:3], v[2:3], s[0:1]
	global_store_dwordx4 v[4:5], v[0:3], off
.LBB0_23:
	s_endpgm
	.section	.rodata,"a",@progbits
	.p2align	6, 0x0
	.amdhsa_kernel bluestein_single_fwd_len663_dim1_dp_op_CI_CI
		.amdhsa_group_segment_fixed_size 10608
		.amdhsa_private_segment_fixed_size 328
		.amdhsa_kernarg_size 104
		.amdhsa_user_sgpr_count 6
		.amdhsa_user_sgpr_private_segment_buffer 1
		.amdhsa_user_sgpr_dispatch_ptr 0
		.amdhsa_user_sgpr_queue_ptr 0
		.amdhsa_user_sgpr_kernarg_segment_ptr 1
		.amdhsa_user_sgpr_dispatch_id 0
		.amdhsa_user_sgpr_flat_scratch_init 0
		.amdhsa_user_sgpr_private_segment_size 0
		.amdhsa_wavefront_size32 1
		.amdhsa_uses_dynamic_stack 0
		.amdhsa_system_sgpr_private_segment_wavefront_offset 1
		.amdhsa_system_sgpr_workgroup_id_x 1
		.amdhsa_system_sgpr_workgroup_id_y 0
		.amdhsa_system_sgpr_workgroup_id_z 0
		.amdhsa_system_sgpr_workgroup_info 0
		.amdhsa_system_vgpr_workitem_id 0
		.amdhsa_next_free_vgpr 256
		.amdhsa_next_free_sgpr 64
		.amdhsa_reserve_vcc 1
		.amdhsa_reserve_flat_scratch 0
		.amdhsa_float_round_mode_32 0
		.amdhsa_float_round_mode_16_64 0
		.amdhsa_float_denorm_mode_32 3
		.amdhsa_float_denorm_mode_16_64 3
		.amdhsa_dx10_clamp 1
		.amdhsa_ieee_mode 1
		.amdhsa_fp16_overflow 0
		.amdhsa_workgroup_processor_mode 1
		.amdhsa_memory_ordered 1
		.amdhsa_forward_progress 0
		.amdhsa_shared_vgpr_count 0
		.amdhsa_exception_fp_ieee_invalid_op 0
		.amdhsa_exception_fp_denorm_src 0
		.amdhsa_exception_fp_ieee_div_zero 0
		.amdhsa_exception_fp_ieee_overflow 0
		.amdhsa_exception_fp_ieee_underflow 0
		.amdhsa_exception_fp_ieee_inexact 0
		.amdhsa_exception_int_div_zero 0
	.end_amdhsa_kernel
	.text
.Lfunc_end0:
	.size	bluestein_single_fwd_len663_dim1_dp_op_CI_CI, .Lfunc_end0-bluestein_single_fwd_len663_dim1_dp_op_CI_CI
                                        ; -- End function
	.section	.AMDGPU.csdata,"",@progbits
; Kernel info:
; codeLenInByte = 31764
; NumSgprs: 66
; NumVgprs: 256
; ScratchSize: 328
; MemoryBound: 0
; FloatMode: 240
; IeeeMode: 1
; LDSByteSize: 10608 bytes/workgroup (compile time only)
; SGPRBlocks: 8
; VGPRBlocks: 31
; NumSGPRsForWavesPerEU: 66
; NumVGPRsForWavesPerEU: 256
; Occupancy: 4
; WaveLimiterHint : 1
; COMPUTE_PGM_RSRC2:SCRATCH_EN: 1
; COMPUTE_PGM_RSRC2:USER_SGPR: 6
; COMPUTE_PGM_RSRC2:TRAP_HANDLER: 0
; COMPUTE_PGM_RSRC2:TGID_X_EN: 1
; COMPUTE_PGM_RSRC2:TGID_Y_EN: 0
; COMPUTE_PGM_RSRC2:TGID_Z_EN: 0
; COMPUTE_PGM_RSRC2:TIDIG_COMP_CNT: 0
	.text
	.p2alignl 6, 3214868480
	.fill 48, 4, 3214868480
	.type	__hip_cuid_b2a576a302cf8167,@object ; @__hip_cuid_b2a576a302cf8167
	.section	.bss,"aw",@nobits
	.globl	__hip_cuid_b2a576a302cf8167
__hip_cuid_b2a576a302cf8167:
	.byte	0                               ; 0x0
	.size	__hip_cuid_b2a576a302cf8167, 1

	.ident	"AMD clang version 19.0.0git (https://github.com/RadeonOpenCompute/llvm-project roc-6.4.0 25133 c7fe45cf4b819c5991fe208aaa96edf142730f1d)"
	.section	".note.GNU-stack","",@progbits
	.addrsig
	.addrsig_sym __hip_cuid_b2a576a302cf8167
	.amdgpu_metadata
---
amdhsa.kernels:
  - .args:
      - .actual_access:  read_only
        .address_space:  global
        .offset:         0
        .size:           8
        .value_kind:     global_buffer
      - .actual_access:  read_only
        .address_space:  global
        .offset:         8
        .size:           8
        .value_kind:     global_buffer
      - .actual_access:  read_only
        .address_space:  global
        .offset:         16
        .size:           8
        .value_kind:     global_buffer
      - .actual_access:  read_only
        .address_space:  global
        .offset:         24
        .size:           8
        .value_kind:     global_buffer
      - .actual_access:  read_only
        .address_space:  global
        .offset:         32
        .size:           8
        .value_kind:     global_buffer
      - .offset:         40
        .size:           8
        .value_kind:     by_value
      - .address_space:  global
        .offset:         48
        .size:           8
        .value_kind:     global_buffer
      - .address_space:  global
        .offset:         56
        .size:           8
        .value_kind:     global_buffer
      - .address_space:  global
        .offset:         64
        .size:           8
        .value_kind:     global_buffer
      - .address_space:  global
        .offset:         72
        .size:           8
        .value_kind:     global_buffer
      - .offset:         80
        .size:           4
        .value_kind:     by_value
      - .address_space:  global
        .offset:         88
        .size:           8
        .value_kind:     global_buffer
      - .address_space:  global
        .offset:         96
        .size:           8
        .value_kind:     global_buffer
    .group_segment_fixed_size: 10608
    .kernarg_segment_align: 8
    .kernarg_segment_size: 104
    .language:       OpenCL C
    .language_version:
      - 2
      - 0
    .max_flat_workgroup_size: 51
    .name:           bluestein_single_fwd_len663_dim1_dp_op_CI_CI
    .private_segment_fixed_size: 328
    .sgpr_count:     66
    .sgpr_spill_count: 0
    .symbol:         bluestein_single_fwd_len663_dim1_dp_op_CI_CI.kd
    .uniform_work_group_size: 1
    .uses_dynamic_stack: false
    .vgpr_count:     256
    .vgpr_spill_count: 113
    .wavefront_size: 32
    .workgroup_processor_mode: 1
amdhsa.target:   amdgcn-amd-amdhsa--gfx1030
amdhsa.version:
  - 1
  - 2
...

	.end_amdgpu_metadata
